;; amdgpu-corpus repo=ROCm/rocFFT kind=compiled arch=gfx1201 opt=O3
	.text
	.amdgcn_target "amdgcn-amd-amdhsa--gfx1201"
	.amdhsa_code_object_version 6
	.protected	bluestein_single_back_len1120_dim1_half_op_CI_CI ; -- Begin function bluestein_single_back_len1120_dim1_half_op_CI_CI
	.globl	bluestein_single_back_len1120_dim1_half_op_CI_CI
	.p2align	8
	.type	bluestein_single_back_len1120_dim1_half_op_CI_CI,@function
bluestein_single_back_len1120_dim1_half_op_CI_CI: ; @bluestein_single_back_len1120_dim1_half_op_CI_CI
; %bb.0:
	s_load_b128 s[4:7], s[0:1], 0x28
	v_mul_u32_u24_e32 v1, 0x125, v0
	s_mov_b32 s2, exec_lo
	v_mov_b32_e32 v11, 0
	s_delay_alu instid0(VALU_DEP_2) | instskip(NEXT) | instid1(VALU_DEP_1)
	v_lshrrev_b32_e32 v1, 16, v1
	v_add_nc_u32_e32 v10, ttmp9, v1
	s_wait_kmcnt 0x0
	s_delay_alu instid0(VALU_DEP_1)
	v_cmpx_gt_u64_e64 s[4:5], v[10:11]
	s_cbranch_execz .LBB0_55
; %bb.1:
	s_clause 0x1
	s_load_b128 s[8:11], s[0:1], 0x18
	s_load_b64 s[16:17], s[0:1], 0x0
	v_mul_lo_u16 v1, 0xe0, v1
	s_movk_i32 s2, 0xfeb0
	s_mov_b32 s3, -1
	s_delay_alu instid0(VALU_DEP_1) | instskip(NEXT) | instid1(VALU_DEP_1)
	v_sub_nc_u16 v7, v0, v1
	v_and_b32_e32 v22, 0xffff, v7
	s_wait_kmcnt 0x0
	s_load_b128 s[12:15], s[8:9], 0x0
	s_wait_kmcnt 0x0
	v_mad_co_u64_u32 v[0:1], null, s14, v10, 0
	v_mad_co_u64_u32 v[2:3], null, s12, v22, 0
	s_mul_u64 s[4:5], s[12:13], 0x230
	s_mul_u64 s[2:3], s[12:13], s[2:3]
	s_delay_alu instid0(SALU_CYCLE_1) | instskip(NEXT) | instid1(VALU_DEP_1)
	s_lshl_b64 s[2:3], s[2:3], 2
	v_mad_co_u64_u32 v[4:5], null, s15, v10, v[1:2]
	s_delay_alu instid0(VALU_DEP_1) | instskip(NEXT) | instid1(VALU_DEP_3)
	v_mov_b32_e32 v1, v4
	v_mad_co_u64_u32 v[5:6], null, s13, v22, v[3:4]
	v_lshlrev_b32_e32 v20, 2, v22
	s_delay_alu instid0(VALU_DEP_3) | instskip(NEXT) | instid1(VALU_DEP_3)
	v_lshlrev_b64_e32 v[0:1], 2, v[0:1]
	v_mov_b32_e32 v3, v5
	s_clause 0x1
	global_load_b32 v25, v20, s[16:17]
	global_load_b32 v21, v20, s[16:17] offset:3136
	v_add_co_u32 v0, vcc_lo, s6, v0
	v_add_co_ci_u32_e32 v1, vcc_lo, s7, v1, vcc_lo
	v_lshlrev_b64_e32 v[2:3], 2, v[2:3]
	s_wait_alu 0xfffe
	s_lshl_b64 s[6:7], s[4:5], 2
	s_clause 0x1
	global_load_b32 v27, v20, s[16:17] offset:2240
	global_load_b32 v24, v20, s[16:17] offset:896
	s_load_b64 s[4:5], s[0:1], 0x38
	v_add_co_u32 v0, vcc_lo, v0, v2
	s_wait_alu 0xfffd
	v_add_co_ci_u32_e32 v1, vcc_lo, v1, v3, vcc_lo
	s_delay_alu instid0(VALU_DEP_2) | instskip(SKIP_1) | instid1(VALU_DEP_2)
	v_add_co_u32 v2, vcc_lo, v0, s6
	s_wait_alu 0xfffd
	v_add_co_ci_u32_e32 v3, vcc_lo, s7, v1, vcc_lo
	global_load_b32 v6, v[0:1], off
	v_add_co_u32 v4, vcc_lo, v2, s2
	global_load_b32 v2, v[2:3], off
	s_wait_alu 0xfffd
	v_add_co_ci_u32_e32 v5, vcc_lo, s3, v3, vcc_lo
	v_add_co_u32 v0, vcc_lo, v4, s6
	s_wait_alu 0xfffd
	s_delay_alu instid0(VALU_DEP_2)
	v_add_co_ci_u32_e32 v1, vcc_lo, s7, v5, vcc_lo
	s_clause 0x1
	global_load_b32 v3, v[4:5], off
	global_load_b32 v4, v[0:1], off
	s_load_b128 s[8:11], s[10:11], 0x0
	v_cmp_gt_u16_e32 vcc_lo, 0x70, v7
	s_wait_loadcnt 0x7
	v_lshrrev_b32_e32 v29, 16, v25
	s_wait_loadcnt 0x6
	v_lshrrev_b32_e32 v23, 16, v21
	s_wait_loadcnt 0x5
	v_lshrrev_b32_e32 v28, 16, v27
	s_wait_loadcnt 0x4
	v_lshrrev_b32_e32 v26, 16, v24
	s_wait_loadcnt 0x3
	v_lshrrev_b32_e32 v5, 16, v6
	v_mul_f16_e32 v8, v29, v6
	s_wait_loadcnt 0x2
	v_lshrrev_b32_e32 v9, 16, v2
	s_delay_alu instid0(VALU_DEP_3) | instskip(NEXT) | instid1(VALU_DEP_3)
	v_mul_f16_e32 v11, v29, v5
	v_fma_f16 v5, v25, v5, -v8
	v_mul_f16_e32 v8, v28, v2
	s_delay_alu instid0(VALU_DEP_4) | instskip(NEXT) | instid1(VALU_DEP_4)
	v_mul_f16_e32 v12, v28, v9
	v_fmac_f16_e32 v11, v25, v6
	s_wait_loadcnt 0x1
	v_lshrrev_b32_e32 v6, 16, v3
	s_wait_loadcnt 0x0
	v_lshrrev_b32_e32 v13, 16, v4
	v_fma_f16 v14, v27, v9, -v8
	v_mul_f16_e32 v8, v26, v3
	v_mul_f16_e32 v9, v23, v4
	;; [unrolled: 1-line block ×4, first 2 shown]
	v_fmac_f16_e32 v12, v27, v2
	v_fma_f16 v2, v24, v6, -v8
	v_add_co_u32 v8, s12, s16, v20
	v_fmac_f16_e32 v15, v24, v3
	v_fma_f16 v3, v21, v13, -v9
	v_fmac_f16_e32 v16, v21, v4
	s_wait_alu 0xf1ff
	v_add_co_ci_u32_e64 v9, null, s17, 0, s12
	v_pack_b32_f16 v4, v11, v5
	v_pack_b32_f16 v5, v12, v14
	;; [unrolled: 1-line block ×4, first 2 shown]
	ds_store_b32 v20, v5 offset:2240
	ds_store_2addr_b32 v20, v4, v2 offset1:224
	ds_store_b32 v20, v3 offset:3136
	s_and_saveexec_b32 s12, vcc_lo
	s_cbranch_execz .LBB0_3
; %bb.2:
	v_add_co_u32 v0, s2, v0, s2
	s_wait_alu 0xf1ff
	v_add_co_ci_u32_e64 v1, s2, s3, v1, s2
	s_delay_alu instid0(VALU_DEP_2) | instskip(SKIP_1) | instid1(VALU_DEP_2)
	v_add_co_u32 v2, s2, v0, s6
	s_wait_alu 0xf1ff
	v_add_co_ci_u32_e64 v3, s2, s7, v1, s2
	s_clause 0x1
	global_load_b32 v4, v[8:9], off offset:1792
	global_load_b32 v5, v[8:9], off offset:4032
	global_load_b32 v0, v[0:1], off
	global_load_b32 v1, v[2:3], off
	s_wait_loadcnt 0x3
	v_lshrrev_b32_e32 v2, 16, v4
	s_wait_loadcnt 0x2
	v_lshrrev_b32_e32 v3, 16, v5
	;; [unrolled: 2-line block ×4, first 2 shown]
	v_mul_f16_e32 v11, v2, v0
	s_delay_alu instid0(VALU_DEP_3) | instskip(NEXT) | instid1(VALU_DEP_3)
	v_mul_f16_e32 v2, v2, v6
	v_mul_f16_e32 v12, v3, v7
	v_mul_f16_e32 v3, v3, v1
	s_delay_alu instid0(VALU_DEP_4) | instskip(NEXT) | instid1(VALU_DEP_4)
	v_fma_f16 v6, v4, v6, -v11
	v_fmac_f16_e32 v2, v4, v0
	s_delay_alu instid0(VALU_DEP_4) | instskip(NEXT) | instid1(VALU_DEP_4)
	v_fmac_f16_e32 v12, v5, v1
	v_fma_f16 v0, v5, v7, -v3
	s_delay_alu instid0(VALU_DEP_3) | instskip(NEXT) | instid1(VALU_DEP_2)
	v_pack_b32_f16 v1, v2, v6
	v_pack_b32_f16 v0, v12, v0
	ds_store_b32 v20, v1 offset:1792
	ds_store_b32 v20, v0 offset:4032
.LBB0_3:
	s_wait_alu 0xfffe
	s_or_b32 exec_lo, exec_lo, s12
	v_add_nc_u32_e32 v0, 0x880, v20
	global_wb scope:SCOPE_SE
	s_wait_dscnt 0x0
	s_wait_kmcnt 0x0
	s_barrier_signal -1
	s_barrier_wait -1
	global_inv scope:SCOPE_SE
	ds_load_2addr_b32 v[2:3], v20 offset1:224
	ds_load_2addr_b32 v[4:5], v0 offset0:16 offset1:240
                                        ; implicit-def: $vgpr0
                                        ; implicit-def: $vgpr1
	s_and_saveexec_b32 s2, vcc_lo
	s_cbranch_execz .LBB0_5
; %bb.4:
	ds_load_b32 v0, v20 offset:1792
	ds_load_b32 v1, v20 offset:4032
.LBB0_5:
	s_wait_alu 0xfffe
	s_or_b32 exec_lo, exec_lo, s2
	s_load_b64 s[2:3], s[0:1], 0x8
	v_lshlrev_b32_e32 v6, 1, v22
	s_wait_dscnt 0x0
	v_pk_add_f16 v1, v0, v1 neg_lo:[0,1] neg_hi:[0,1]
	v_add_co_u32 v7, null, 0x1c0, v22
	v_pk_add_f16 v12, v2, v4 neg_lo:[0,1] neg_hi:[0,1]
	v_pk_add_f16 v4, v3, v5 neg_lo:[0,1] neg_hi:[0,1]
	s_delay_alu instid0(VALU_DEP_4)
	v_pk_fma_f16 v0, v0, 2.0, v1 op_sel_hi:[1,0,1] neg_lo:[0,0,1] neg_hi:[0,0,1]
	v_lshlrev_b32_e32 v35, 3, v22
	v_add_nc_u32_e32 v40, 0x1c0, v6
	v_pk_fma_f16 v11, v2, 2.0, v12 op_sel_hi:[1,0,1] neg_lo:[0,0,1] neg_hi:[0,0,1]
	v_lshlrev_b32_e32 v34, 3, v7
	v_lshlrev_b32_e32 v2, 2, v6
	v_pk_fma_f16 v3, v3, 2.0, v4 op_sel_hi:[1,0,1] neg_lo:[0,0,1] neg_hi:[0,0,1]
	global_wb scope:SCOPE_SE
	s_wait_kmcnt 0x0
	s_barrier_signal -1
	s_barrier_wait -1
	global_inv scope:SCOPE_SE
	ds_store_b64 v35, v[11:12]
	ds_store_b64 v2, v[3:4] offset:1792
	s_and_saveexec_b32 s0, vcc_lo
	s_cbranch_execz .LBB0_7
; %bb.6:
	ds_store_b64 v34, v[0:1]
.LBB0_7:
	s_wait_alu 0xfffe
	s_or_b32 exec_lo, exec_lo, s0
	v_add_nc_u32_e32 v4, 0x880, v20
	global_wb scope:SCOPE_SE
	s_wait_dscnt 0x0
	s_barrier_signal -1
	s_barrier_wait -1
	global_inv scope:SCOPE_SE
	ds_load_2addr_b32 v[2:3], v20 offset1:224
	ds_load_2addr_b32 v[4:5], v4 offset0:16 offset1:240
	s_and_saveexec_b32 s0, vcc_lo
	s_cbranch_execz .LBB0_9
; %bb.8:
	ds_load_b32 v0, v20 offset:1792
	ds_load_b32 v1, v20 offset:4032
.LBB0_9:
	s_wait_alu 0xfffe
	s_or_b32 exec_lo, exec_lo, s0
	v_and_b32_e32 v31, 1, v22
	s_wait_dscnt 0x0
	v_lshrrev_b32_e32 v15, 16, v1
	v_lshrrev_b32_e32 v14, 16, v5
	v_lshlrev_b32_e32 v30, 1, v7
	v_lshrrev_b32_e32 v12, 16, v2
	v_lshlrev_b32_e32 v11, 2, v31
	v_and_or_b32 v17, 0x3fc, v40, v31
	v_and_or_b32 v7, 0x1fc, v6, v31
	v_lshrrev_b32_e32 v13, 16, v3
	v_lshrrev_b32_e32 v16, 16, v0
	global_load_b32 v32, v11, s[2:3]
	v_lshrrev_b32_e32 v11, 16, v4
	v_lshlrev_b32_e32 v37, 2, v17
	v_lshlrev_b32_e32 v36, 2, v7
	global_wb scope:SCOPE_SE
	s_wait_loadcnt 0x0
	s_barrier_signal -1
	s_barrier_wait -1
	global_inv scope:SCOPE_SE
	v_lshrrev_b32_e32 v43, 16, v32
	v_mul_f16_e32 v17, v15, v32
	v_mul_f16_e32 v7, v1, v32
	s_delay_alu instid0(VALU_DEP_3)
	v_mul_f16_e32 v18, v11, v43
	v_mul_f16_e32 v19, v4, v43
	;; [unrolled: 1-line block ×4, first 2 shown]
	v_fmac_f16_e32 v17, v1, v43
	v_fma_f16 v1, v4, v32, -v18
	v_fmac_f16_e32 v19, v11, v32
	v_fma_f16 v4, v5, v32, -v33
	v_fmac_f16_e32 v38, v14, v32
	v_fma_f16 v7, -v15, v43, v7
	v_sub_f16_e32 v1, v2, v1
	v_sub_f16_e32 v5, v12, v19
	;; [unrolled: 1-line block ×6, first 2 shown]
	v_fma_f16 v2, v2, 2.0, -v1
	v_fma_f16 v12, v12, 2.0, -v5
	;; [unrolled: 1-line block ×5, first 2 shown]
	v_pack_b32_f16 v0, v1, v5
	v_pack_b32_f16 v2, v2, v12
	v_fma_f16 v5, v16, 2.0, -v11
	v_pack_b32_f16 v1, v14, v15
	v_pack_b32_f16 v3, v3, v13
	ds_store_2addr_b32 v36, v2, v0 offset1:2
	ds_store_2addr_b32 v37, v3, v1 offset1:2
	s_and_saveexec_b32 s0, vcc_lo
	s_cbranch_execz .LBB0_11
; %bb.10:
	v_and_or_b32 v0, 0x7fc, v30, v31
	v_perm_b32 v1, v5, v4, 0x5040100
	v_perm_b32 v2, v11, v7, 0x5040100
	s_delay_alu instid0(VALU_DEP_3)
	v_lshlrev_b32_e32 v0, 2, v0
	ds_store_2addr_b32 v0, v1, v2 offset1:2
.LBB0_11:
	s_wait_alu 0xfffe
	s_or_b32 exec_lo, exec_lo, s0
	v_add_nc_u32_e32 v2, 0x880, v20
	global_wb scope:SCOPE_SE
	s_wait_dscnt 0x0
	s_barrier_signal -1
	s_barrier_wait -1
	global_inv scope:SCOPE_SE
	ds_load_2addr_b32 v[0:1], v20 offset1:224
	ds_load_2addr_b32 v[2:3], v2 offset0:16 offset1:240
	s_and_saveexec_b32 s0, vcc_lo
	s_cbranch_execz .LBB0_13
; %bb.12:
	ds_load_b32 v4, v20 offset:1792
	ds_load_b32 v7, v20 offset:4032
	s_wait_dscnt 0x1
	v_lshrrev_b32_e32 v5, 16, v4
	s_wait_dscnt 0x0
	v_lshrrev_b32_e32 v11, 16, v7
.LBB0_13:
	s_wait_alu 0xfffe
	s_or_b32 exec_lo, exec_lo, s0
	v_and_b32_e32 v33, 3, v22
	s_wait_dscnt 0x0
	v_lshrrev_b32_e32 v13, 16, v2
	v_lshrrev_b32_e32 v15, 16, v3
	;; [unrolled: 1-line block ×3, first 2 shown]
	v_lshlrev_b32_e32 v12, 2, v33
	v_and_or_b32 v16, 0x1f8, v6, v33
	v_and_or_b32 v17, 0x3f8, v40, v33
	global_load_b32 v39, v12, s[2:3] offset:8
	v_lshlrev_b32_e32 v41, 2, v16
	v_lshlrev_b32_e32 v42, 2, v17
	v_lshrrev_b32_e32 v12, 16, v0
	global_wb scope:SCOPE_SE
	s_wait_loadcnt 0x0
	s_barrier_signal -1
	s_barrier_wait -1
	global_inv scope:SCOPE_SE
	v_lshrrev_b32_e32 v46, 16, v39
	s_delay_alu instid0(VALU_DEP_1)
	v_mul_f16_e32 v16, v13, v46
	v_mul_f16_e32 v17, v2, v46
	;; [unrolled: 1-line block ×6, first 2 shown]
	v_fma_f16 v2, v2, v39, -v16
	v_fmac_f16_e32 v17, v13, v39
	v_fma_f16 v3, v3, v39, -v18
	v_fmac_f16_e32 v19, v15, v39
	;; [unrolled: 2-line block ×3, first 2 shown]
	v_sub_f16_e32 v2, v0, v2
	v_sub_f16_e32 v13, v12, v17
	;; [unrolled: 1-line block ×6, first 2 shown]
	v_fma_f16 v0, v0, 2.0, -v2
	v_fma_f16 v12, v12, 2.0, -v13
	;; [unrolled: 1-line block ×5, first 2 shown]
	v_pack_b32_f16 v2, v2, v13
	v_pack_b32_f16 v0, v0, v12
	v_fma_f16 v5, v5, 2.0, -v11
	v_pack_b32_f16 v3, v3, v15
	v_pack_b32_f16 v1, v1, v14
	ds_store_2addr_b32 v41, v0, v2 offset1:4
	ds_store_2addr_b32 v42, v1, v3 offset1:4
	s_and_saveexec_b32 s0, vcc_lo
	s_cbranch_execz .LBB0_15
; %bb.14:
	v_and_or_b32 v0, 0x7f8, v30, v33
	v_perm_b32 v1, v5, v4, 0x5040100
	v_perm_b32 v2, v11, v7, 0x5040100
	s_delay_alu instid0(VALU_DEP_3)
	v_lshlrev_b32_e32 v0, 2, v0
	ds_store_2addr_b32 v0, v1, v2 offset1:4
.LBB0_15:
	s_wait_alu 0xfffe
	s_or_b32 exec_lo, exec_lo, s0
	v_add_nc_u32_e32 v2, 0x880, v20
	global_wb scope:SCOPE_SE
	s_wait_dscnt 0x0
	s_barrier_signal -1
	s_barrier_wait -1
	global_inv scope:SCOPE_SE
	ds_load_2addr_b32 v[0:1], v20 offset1:224
	ds_load_2addr_b32 v[2:3], v2 offset0:16 offset1:240
	s_and_saveexec_b32 s0, vcc_lo
	s_cbranch_execz .LBB0_17
; %bb.16:
	ds_load_b32 v4, v20 offset:1792
	ds_load_b32 v7, v20 offset:4032
	s_wait_dscnt 0x1
	v_lshrrev_b32_e32 v5, 16, v4
	s_wait_dscnt 0x0
	v_lshrrev_b32_e32 v11, 16, v7
.LBB0_17:
	s_wait_alu 0xfffe
	s_or_b32 exec_lo, exec_lo, s0
	v_and_b32_e32 v38, 7, v22
	s_wait_dscnt 0x0
	v_lshrrev_b32_e32 v13, 16, v2
	v_lshrrev_b32_e32 v15, 16, v3
	;; [unrolled: 1-line block ×3, first 2 shown]
	v_lshlrev_b32_e32 v12, 2, v38
	v_and_or_b32 v16, 0x1f0, v6, v38
	v_and_or_b32 v17, 0x3f0, v40, v38
	global_load_b32 v45, v12, s[2:3] offset:24
	v_lshlrev_b32_e32 v47, 2, v16
	v_lshlrev_b32_e32 v48, 2, v17
	v_lshrrev_b32_e32 v12, 16, v0
	global_wb scope:SCOPE_SE
	s_wait_loadcnt 0x0
	s_barrier_signal -1
	s_barrier_wait -1
	global_inv scope:SCOPE_SE
	v_lshrrev_b32_e32 v53, 16, v45
	s_delay_alu instid0(VALU_DEP_1)
	v_mul_f16_e32 v16, v13, v53
	v_mul_f16_e32 v17, v2, v53
	;; [unrolled: 1-line block ×6, first 2 shown]
	v_fma_f16 v2, v2, v45, -v16
	v_fmac_f16_e32 v17, v13, v45
	v_fma_f16 v3, v3, v45, -v18
	v_fmac_f16_e32 v19, v15, v45
	v_fma_f16 v7, v7, v45, -v44
	v_fmac_f16_e32 v49, v11, v45
	v_sub_f16_e32 v2, v0, v2
	v_sub_f16_e32 v13, v12, v17
	;; [unrolled: 1-line block ×6, first 2 shown]
	v_fma_f16 v0, v0, 2.0, -v2
	v_fma_f16 v12, v12, 2.0, -v13
	v_fma_f16 v1, v1, 2.0, -v3
	v_fma_f16 v14, v14, 2.0, -v15
	v_fma_f16 v4, v4, 2.0, -v11
	v_pack_b32_f16 v2, v2, v13
	v_pack_b32_f16 v0, v0, v12
	v_fma_f16 v5, v5, 2.0, -v7
	v_pack_b32_f16 v3, v3, v15
	v_pack_b32_f16 v1, v1, v14
	ds_store_2addr_b32 v47, v0, v2 offset1:8
	ds_store_2addr_b32 v48, v1, v3 offset1:8
	s_and_saveexec_b32 s0, vcc_lo
	s_cbranch_execz .LBB0_19
; %bb.18:
	v_and_or_b32 v0, 0x7f0, v30, v38
	v_perm_b32 v1, v5, v4, 0x5040100
	v_perm_b32 v2, v7, v11, 0x5040100
	s_delay_alu instid0(VALU_DEP_3)
	v_lshlrev_b32_e32 v0, 2, v0
	ds_store_2addr_b32 v0, v1, v2 offset1:8
.LBB0_19:
	s_wait_alu 0xfffe
	s_or_b32 exec_lo, exec_lo, s0
	v_add_nc_u32_e32 v2, 0x880, v20
	global_wb scope:SCOPE_SE
	s_wait_dscnt 0x0
	s_barrier_signal -1
	s_barrier_wait -1
	global_inv scope:SCOPE_SE
	ds_load_2addr_b32 v[0:1], v20 offset1:224
	ds_load_2addr_b32 v[2:3], v2 offset0:16 offset1:240
	s_and_saveexec_b32 s0, vcc_lo
	s_cbranch_execz .LBB0_21
; %bb.20:
	ds_load_b32 v4, v20 offset:1792
	ds_load_b32 v11, v20 offset:4032
	s_wait_dscnt 0x1
	v_lshrrev_b32_e32 v5, 16, v4
	s_wait_dscnt 0x0
	v_lshrrev_b32_e32 v7, 16, v11
.LBB0_21:
	s_wait_alu 0xfffe
	s_or_b32 exec_lo, exec_lo, s0
	v_and_b32_e32 v44, 15, v22
	s_wait_dscnt 0x0
	v_lshrrev_b32_e32 v13, 16, v2
	v_lshrrev_b32_e32 v15, 16, v3
	;; [unrolled: 1-line block ×3, first 2 shown]
	v_lshlrev_b32_e32 v12, 2, v44
	v_and_or_b32 v6, 0x1e0, v6, v44
	v_and_or_b32 v16, 0x3e0, v40, v44
	global_load_b32 v49, v12, s[2:3] offset:56
	v_lshlrev_b32_e32 v51, 2, v6
	v_lshlrev_b32_e32 v52, 2, v16
	v_lshrrev_b32_e32 v12, 16, v0
	global_wb scope:SCOPE_SE
	s_wait_loadcnt 0x0
	s_barrier_signal -1
	s_barrier_wait -1
	global_inv scope:SCOPE_SE
	v_lshrrev_b32_e32 v54, 16, v49
	s_delay_alu instid0(VALU_DEP_1)
	v_mul_f16_e32 v6, v13, v54
	v_mul_f16_e32 v16, v2, v54
	;; [unrolled: 1-line block ×5, first 2 shown]
	v_fma_f16 v2, v2, v49, -v6
	v_fmac_f16_e32 v16, v13, v49
	v_fma_f16 v3, v3, v49, -v17
	v_fmac_f16_e32 v18, v15, v49
	v_mul_f16_e32 v50, v11, v54
	v_fma_f16 v6, v11, v49, -v19
	v_sub_f16_e32 v2, v0, v2
	v_sub_f16_e32 v11, v12, v16
	v_sub_f16_e32 v3, v1, v3
	v_sub_f16_e32 v13, v14, v18
	v_fmac_f16_e32 v50, v7, v49
	v_fma_f16 v0, v0, 2.0, -v2
	v_fma_f16 v7, v12, 2.0, -v11
	;; [unrolled: 1-line block ×4, first 2 shown]
	v_sub_f16_e32 v14, v4, v6
	v_pack_b32_f16 v2, v2, v11
	v_pack_b32_f16 v0, v0, v7
	v_sub_f16_e32 v64, v5, v50
	v_pack_b32_f16 v3, v3, v13
	v_pack_b32_f16 v1, v1, v12
	ds_store_2addr_b32 v51, v0, v2 offset1:16
	ds_store_2addr_b32 v52, v1, v3 offset1:16
	s_and_saveexec_b32 s0, vcc_lo
	s_cbranch_execz .LBB0_23
; %bb.22:
	v_fma_f16 v0, v4, 2.0, -v14
	v_and_or_b32 v1, 0x7e0, v30, v44
	v_fma_f16 v2, v5, 2.0, -v64
	s_delay_alu instid0(VALU_DEP_2) | instskip(NEXT) | instid1(VALU_DEP_2)
	v_lshlrev_b32_e32 v1, 2, v1
	v_pack_b32_f16 v0, v0, v2
	v_perm_b32 v2, v64, v14, 0x5040100
	ds_store_2addr_b32 v1, v0, v2 offset1:16
.LBB0_23:
	s_wait_alu 0xfffe
	s_or_b32 exec_lo, exec_lo, s0
	v_and_b32_e32 v6, 31, v22
	global_wb scope:SCOPE_SE
	s_wait_dscnt 0x0
	s_barrier_signal -1
	s_barrier_wait -1
	global_inv scope:SCOPE_SE
	v_lshlrev_b32_e32 v0, 4, v6
	v_add_nc_u32_e32 v4, 0x700, v20
	v_lshrrev_b32_e32 v11, 5, v22
	v_cmp_gt_u16_e64 s0, 0xa0, v22
	global_load_b128 v[0:3], v0, s[2:3] offset:120
	ds_load_2addr_b32 v[15:16], v20 offset1:224
	ds_load_b32 v7, v20 offset:3584
	ds_load_2addr_b32 v[4:5], v4 offset1:224
	v_mul_u32_u24_e32 v11, 0xa0, v11
	global_wb scope:SCOPE_SE
	s_wait_loadcnt_dscnt 0x0
	s_barrier_signal -1
	s_barrier_wait -1
	global_inv scope:SCOPE_SE
	v_or_b32_e32 v6, v11, v6
	s_delay_alu instid0(VALU_DEP_1)
	v_lshlrev_b32_e32 v50, 2, v6
	v_lshrrev_b32_e32 v6, 16, v16
	v_lshrrev_b32_e32 v11, 16, v7
	;; [unrolled: 1-line block ×9, first 2 shown]
	s_delay_alu instid0(VALU_DEP_4)
	v_mul_f16_e32 v17, v6, v62
	v_mul_f16_e32 v18, v16, v62
	;; [unrolled: 1-line block ×8, first 2 shown]
	v_fma_f16 v16, v16, v0, -v17
	v_fmac_f16_e32 v18, v6, v0
	v_fma_f16 v4, v4, v1, -v19
	v_fmac_f16_e32 v55, v12, v1
	;; [unrolled: 2-line block ×4, first 2 shown]
	v_sub_f16_e32 v66, v4, v16
	v_add_f16_e32 v11, v4, v5
	v_add_f16_e32 v70, v55, v57
	v_sub_f16_e32 v67, v5, v6
	v_add_f16_e32 v58, v16, v6
	v_add_f16_e32 v73, v18, v59
	;; [unrolled: 1-line block ×3, first 2 shown]
	v_sub_f16_e32 v12, v18, v59
	v_sub_f16_e32 v17, v16, v4
	;; [unrolled: 1-line block ×3, first 2 shown]
	v_add_f16_e32 v68, v65, v18
	v_pack_b32_f16 v69, v6, v59
	v_sub_f16_e32 v6, v16, v6
	v_fma_f16 v13, -0.5, v11, v15
	v_add_f16_e32 v11, v66, v67
	v_fma_f16 v66, -0.5, v70, v65
	v_sub_f16_e32 v19, v55, v57
	v_sub_f16_e32 v16, v4, v5
	;; [unrolled: 1-line block ×6, first 2 shown]
	v_fmac_f16_e32 v15, -0.5, v58
	v_fmac_f16_e32 v65, -0.5, v73
	v_add_f16_e32 v4, v7, v4
	v_add_f16_e32 v7, v17, v56
	v_add_f16_e32 v55, v68, v55
	v_fmamk_f16 v17, v12, 0x3b9c, v13
	v_fmamk_f16 v67, v6, 0xbb9c, v66
	v_add_f16_e32 v58, v18, v59
	v_fmamk_f16 v18, v19, 0xbb9c, v15
	v_fmac_f16_e32 v15, 0x3b9c, v19
	v_fmamk_f16 v68, v16, 0x3b9c, v65
	v_fmac_f16_e32 v65, 0xbb9c, v16
	v_fmac_f16_e32 v13, 0xbb9c, v12
	;; [unrolled: 1-line block ×3, first 2 shown]
	v_add_f16_e32 v56, v71, v72
	v_add_f16_e32 v4, v4, v5
	;; [unrolled: 1-line block ×3, first 2 shown]
	v_fmac_f16_e32 v17, 0x38b4, v19
	v_fmac_f16_e32 v67, 0xb8b4, v16
	;; [unrolled: 1-line block ×8, first 2 shown]
	v_pack_b32_f16 v4, v4, v5
	v_fmac_f16_e32 v17, 0x34f2, v7
	v_fmac_f16_e32 v67, 0x34f2, v56
	;; [unrolled: 1-line block ×8, first 2 shown]
	v_pk_add_f16 v16, v4, v69
	v_pack_b32_f16 v4, v17, v67
	v_pack_b32_f16 v5, v18, v68
	;; [unrolled: 1-line block ×4, first 2 shown]
	ds_store_2addr_b32 v50, v16, v4 offset1:32
	ds_store_2addr_b32 v50, v5, v6 offset0:64 offset1:96
	ds_store_b32 v50, v7 offset:512
	global_wb scope:SCOPE_SE
	s_wait_dscnt 0x0
	s_barrier_signal -1
	s_barrier_wait -1
	global_inv scope:SCOPE_SE
                                        ; implicit-def: $vgpr69
                                        ; implicit-def: $vgpr70
	s_and_saveexec_b32 s1, s0
	s_cbranch_execz .LBB0_25
; %bb.24:
	v_add_nc_u32_e32 v4, 0x400, v20
	v_add_nc_u32_e32 v5, 0xa00, v20
	ds_load_2addr_b32 v[16:17], v20 offset1:160
	ds_load_b32 v69, v20 offset:3840
	ds_load_2addr_b32 v[18:19], v4 offset0:64 offset1:224
	ds_load_2addr_b32 v[13:14], v5 offset1:160
	s_wait_dscnt 0x3
	v_lshrrev_b32_e32 v67, 16, v17
	s_wait_dscnt 0x2
	v_lshrrev_b32_e32 v70, 16, v69
	s_wait_dscnt 0x1
	v_mov_b32_e32 v15, v19
	v_lshrrev_b32_e32 v68, 16, v18
	v_lshrrev_b32_e32 v65, 16, v19
	s_wait_dscnt 0x0
	v_lshrrev_b32_e32 v66, 16, v13
	v_lshrrev_b32_e32 v64, 16, v14
.LBB0_25:
	s_wait_alu 0xfffe
	s_or_b32 exec_lo, exec_lo, s1
	v_add_nc_u32_e32 v4, 0xffffff60, v22
	s_delay_alu instid0(VALU_DEP_1) | instskip(NEXT) | instid1(VALU_DEP_1)
	v_cndmask_b32_e64 v4, v4, v22, s0
	v_mul_i32_i24_e32 v5, 24, v4
	v_mul_hi_i32_i24_e32 v4, 24, v4
	s_delay_alu instid0(VALU_DEP_2) | instskip(SKIP_1) | instid1(VALU_DEP_2)
	v_add_co_u32 v11, s1, s2, v5
	s_wait_alu 0xf1ff
	v_add_co_ci_u32_e64 v12, s1, s3, v4, s1
	s_clause 0x1
	global_load_b128 v[4:7], v[11:12], off offset:632
	global_load_b64 v[11:12], v[11:12], off offset:648
	s_wait_loadcnt 0x1
	v_lshrrev_b32_e32 v58, 16, v4
	v_lshrrev_b32_e32 v56, 16, v5
	;; [unrolled: 1-line block ×3, first 2 shown]
	s_wait_loadcnt 0x0
	v_lshrrev_b32_e32 v57, 16, v11
	v_lshrrev_b32_e32 v59, 16, v12
	;; [unrolled: 1-line block ×3, first 2 shown]
	v_mul_f16_e32 v71, v67, v58
	v_mul_f16_e32 v72, v17, v58
	;; [unrolled: 1-line block ×12, first 2 shown]
	v_fma_f16 v17, v17, v4, -v71
	v_fmac_f16_e32 v72, v67, v4
	v_fma_f16 v18, v18, v5, -v73
	v_fmac_f16_e32 v74, v68, v5
	v_fmac_f16_e32 v76, v65, v6
	v_fma_f16 v65, v69, v12, -v81
	v_fmac_f16_e32 v82, v70, v12
	v_fma_f16 v14, v14, v11, -v79
	;; [unrolled: 2-line block ×3, first 2 shown]
	v_fma_f16 v13, v13, v7, -v77
	v_fmac_f16_e32 v78, v66, v7
	v_pack_b32_f16 v17, v17, v72
	v_pack_b32_f16 v64, v65, v82
	;; [unrolled: 1-line block ×6, first 2 shown]
	v_pk_add_f16 v65, v17, v64
	v_pk_add_f16 v17, v17, v64 neg_lo:[0,1] neg_hi:[0,1]
	v_pk_add_f16 v66, v18, v14
	v_pk_add_f16 v14, v18, v14 neg_lo:[0,1] neg_hi:[0,1]
	;; [unrolled: 2-line block ×3, first 2 shown]
	s_delay_alu instid0(VALU_DEP_4) | instskip(SKIP_1) | instid1(VALU_DEP_4)
	v_pk_add_f16 v18, v66, v65
	v_pk_add_f16 v15, v66, v65 neg_lo:[0,1] neg_hi:[0,1]
	v_pk_add_f16 v65, v65, v64 neg_lo:[0,1] neg_hi:[0,1]
	;; [unrolled: 1-line block ×3, first 2 shown]
	v_pk_add_f16 v68, v13, v14 op_sel:[1,1] op_sel_hi:[0,0] neg_lo:[0,1] neg_hi:[0,1]
	v_bfi_b32 v67, 0xffff, v18, v64
	v_bfi_b32 v18, 0xffff, v64, v18
	v_pk_add_f16 v64, v13, v14 op_sel:[1,1] op_sel_hi:[0,0]
	v_pk_add_f16 v69, v17, v13 op_sel:[1,1] op_sel_hi:[0,0] neg_lo:[0,1] neg_hi:[0,1]
	v_pk_add_f16 v13, v14, v17 op_sel:[1,1] op_sel_hi:[0,0] neg_lo:[0,1] neg_hi:[0,1]
	s_delay_alu instid0(VALU_DEP_4) | instskip(NEXT) | instid1(VALU_DEP_4)
	v_pk_add_f16 v14, v67, v18
	v_pk_add_f16 v17, v64, v17 op_sel:[0,1] op_sel_hi:[1,0]
	v_pk_mul_f16 v18, 0x2b26, v66 op_sel_hi:[0,1]
	v_pk_mul_f16 v64, 0x3a52, v65 op_sel_hi:[0,1]
	;; [unrolled: 1-line block ×3, first 2 shown]
	v_pk_add_f16 v13, v16, v14
	v_pk_mul_f16 v16, 0x3574, v69 op_sel_hi:[0,1]
	v_pk_fma_f16 v18, 0x39e0, v15, v18 op_sel_hi:[0,1,1] neg_lo:[0,0,1] neg_hi:[0,0,1]
	v_pk_fma_f16 v15, 0x39e0, v15, v64 op_sel_hi:[0,1,1] neg_lo:[0,1,1] neg_hi:[0,1,1]
	;; [unrolled: 1-line block ×3, first 2 shown]
	v_pk_fma_f16 v14, 0xbcab, v14, v13 op_sel_hi:[0,1,1]
	v_pk_fma_f16 v65, 0x3574, v69, v65 op_sel_hi:[0,1,1] neg_lo:[0,1,1] neg_hi:[0,1,1]
	v_pk_fma_f16 v64, 0x2b26, v66, v64 op_sel_hi:[0,1,1]
	v_pk_fma_f16 v16, 0xb846, v68, v16 op_sel_hi:[0,1,1]
	;; [unrolled: 1-line block ×3, first 2 shown]
	v_pk_add_f16 v18, v18, v14
	v_pk_fma_f16 v65, 0x370e, v17, v65 op_sel_hi:[0,1,1]
	v_pk_add_f16 v67, v15, v14
	v_pk_fma_f16 v68, 0x370e, v17, v16 op_sel_hi:[0,1,1]
	v_pk_add_f16 v69, v64, v14
	v_pk_add_f16 v14, v18, v66
	v_pk_add_f16 v15, v18, v66 neg_lo:[0,1] neg_hi:[0,1]
	v_pk_add_f16 v16, v67, v65 neg_lo:[0,1] neg_hi:[0,1]
	v_pk_add_f16 v66, v67, v65
	v_pk_add_f16 v64, v69, v68 neg_lo:[0,1] neg_hi:[0,1]
	v_pk_add_f16 v65, v69, v68
	v_bfi_b32 v17, 0xffff, v14, v15
	s_delay_alu instid0(VALU_DEP_4)
	v_bfi_b32 v18, 0xffff, v16, v66
	s_and_saveexec_b32 s1, s0
	s_cbranch_execz .LBB0_27
; %bb.26:
	v_bfi_b32 v67, 0xffff, v65, v64
	v_bfi_b32 v16, 0xffff, v66, v16
	v_bfi_b32 v14, 0xffff, v15, v14
	v_add_nc_u32_e32 v15, 0x400, v20
	v_add_nc_u32_e32 v66, 0xa00, v20
	v_bfi_b32 v68, 0xffff, v64, v65
	ds_store_2addr_b32 v20, v13, v67 offset1:160
	ds_store_2addr_b32 v15, v16, v14 offset0:64 offset1:224
	ds_store_2addr_b32 v66, v17, v18 offset1:160
	ds_store_b32 v20, v68 offset:3840
.LBB0_27:
	s_wait_alu 0xfffe
	s_or_b32 exec_lo, exec_lo, s1
	s_add_nc_u64 s[2:3], s[16:17], 0x1180
	global_wb scope:SCOPE_SE
	s_wait_dscnt 0x0
	s_barrier_signal -1
	s_barrier_wait -1
	global_inv scope:SCOPE_SE
	s_clause 0x3
	global_load_b32 v15, v[8:9], off offset:4480
	global_load_b32 v16, v20, s[2:3] offset:3136
	global_load_b32 v66, v20, s[2:3] offset:896
	global_load_b32 v67, v20, s[2:3] offset:2240
	ds_load_2addr_b32 v[13:14], v20 offset1:224
	s_wait_dscnt 0x0
	v_lshrrev_b32_e32 v68, 16, v13
	v_lshrrev_b32_e32 v70, 16, v14
	s_wait_loadcnt 0x3
	v_lshrrev_b32_e32 v69, 16, v15
	s_wait_loadcnt 0x1
	v_lshrrev_b32_e32 v71, 16, v66
	s_delay_alu instid0(VALU_DEP_2) | instskip(SKIP_1) | instid1(VALU_DEP_3)
	v_mul_f16_e32 v72, v68, v69
	v_mul_f16_e32 v69, v13, v69
	;; [unrolled: 1-line block ×4, first 2 shown]
	s_delay_alu instid0(VALU_DEP_4) | instskip(NEXT) | instid1(VALU_DEP_4)
	v_fma_f16 v13, v13, v15, -v72
	v_fmac_f16_e32 v69, v68, v15
	s_delay_alu instid0(VALU_DEP_4) | instskip(NEXT) | instid1(VALU_DEP_4)
	v_fma_f16 v14, v14, v66, -v73
	v_fmac_f16_e32 v71, v70, v66
	s_wait_loadcnt 0x0
	v_lshrrev_b32_e32 v68, 16, v67
	v_pack_b32_f16 v15, v13, v69
	v_add_nc_u32_e32 v13, 0x880, v20
	v_pack_b32_f16 v66, v14, v71
	v_lshrrev_b32_e32 v69, 16, v16
	ds_store_b32 v20, v15
	ds_load_2addr_b32 v[14:15], v13 offset0:16 offset1:240
	s_wait_dscnt 0x0
	v_lshrrev_b32_e32 v70, 16, v14
	v_lshrrev_b32_e32 v71, 16, v15
	v_mul_f16_e32 v72, v14, v68
	v_mul_f16_e32 v73, v15, v69
	s_delay_alu instid0(VALU_DEP_4) | instskip(NEXT) | instid1(VALU_DEP_4)
	v_mul_f16_e32 v68, v70, v68
	v_mul_f16_e32 v69, v71, v69
	s_delay_alu instid0(VALU_DEP_4) | instskip(NEXT) | instid1(VALU_DEP_4)
	v_fmac_f16_e32 v72, v70, v67
	v_fmac_f16_e32 v73, v71, v16
	s_delay_alu instid0(VALU_DEP_4) | instskip(NEXT) | instid1(VALU_DEP_4)
	v_fma_f16 v14, v14, v67, -v68
	v_fma_f16 v15, v15, v16, -v69
	s_delay_alu instid0(VALU_DEP_2) | instskip(NEXT) | instid1(VALU_DEP_2)
	v_pack_b32_f16 v14, v14, v72
	v_pack_b32_f16 v15, v15, v73
	ds_store_b32 v20, v66 offset:896
	ds_store_2addr_b32 v13, v14, v15 offset0:16 offset1:240
	s_and_saveexec_b32 s1, vcc_lo
	s_cbranch_execz .LBB0_29
; %bb.28:
	s_wait_alu 0xfffe
	v_add_co_u32 v14, s2, s2, v20
	s_wait_alu 0xf1ff
	v_add_co_ci_u32_e64 v15, null, s3, 0, s2
	s_clause 0x1
	global_load_b32 v16, v[14:15], off offset:1792
	global_load_b32 v14, v[14:15], off offset:4032
	ds_load_b32 v15, v20 offset:1792
	ds_load_b32 v66, v20 offset:4032
	s_wait_dscnt 0x1
	v_lshrrev_b32_e32 v67, 16, v15
	s_wait_dscnt 0x0
	v_lshrrev_b32_e32 v69, 16, v66
	s_wait_loadcnt 0x1
	v_lshrrev_b32_e32 v68, 16, v16
	s_wait_loadcnt 0x0
	v_lshrrev_b32_e32 v70, 16, v14
	s_delay_alu instid0(VALU_DEP_2) | instskip(SKIP_1) | instid1(VALU_DEP_3)
	v_mul_f16_e32 v71, v67, v68
	v_mul_f16_e32 v68, v15, v68
	;; [unrolled: 1-line block ×4, first 2 shown]
	s_delay_alu instid0(VALU_DEP_4) | instskip(NEXT) | instid1(VALU_DEP_4)
	v_fma_f16 v15, v15, v16, -v71
	v_fmac_f16_e32 v68, v67, v16
	s_delay_alu instid0(VALU_DEP_4) | instskip(NEXT) | instid1(VALU_DEP_4)
	v_fma_f16 v16, v66, v14, -v72
	v_fmac_f16_e32 v70, v69, v14
	s_delay_alu instid0(VALU_DEP_3) | instskip(NEXT) | instid1(VALU_DEP_2)
	v_pack_b32_f16 v14, v15, v68
	v_pack_b32_f16 v15, v16, v70
	ds_store_b32 v20, v14 offset:1792
	ds_store_b32 v20, v15 offset:4032
.LBB0_29:
	s_wait_alu 0xfffe
	s_or_b32 exec_lo, exec_lo, s1
	global_wb scope:SCOPE_SE
	s_wait_dscnt 0x0
	s_barrier_signal -1
	s_barrier_wait -1
	global_inv scope:SCOPE_SE
	ds_load_2addr_b32 v[15:16], v20 offset1:224
	ds_load_2addr_b32 v[13:14], v13 offset0:16 offset1:240
	v_lshlrev_b32_e32 v40, 2, v40
	s_and_saveexec_b32 s1, vcc_lo
	s_cbranch_execz .LBB0_31
; %bb.30:
	ds_load_b32 v17, v20 offset:1792
	ds_load_b32 v18, v20 offset:4032
.LBB0_31:
	s_wait_alu 0xfffe
	s_or_b32 exec_lo, exec_lo, s1
	s_wait_dscnt 0x0
	v_pk_add_f16 v67, v15, v13 neg_lo:[0,1] neg_hi:[0,1]
	v_pk_add_f16 v69, v16, v14 neg_lo:[0,1] neg_hi:[0,1]
	;; [unrolled: 1-line block ×3, first 2 shown]
	global_wb scope:SCOPE_SE
	s_barrier_signal -1
	v_pk_fma_f16 v66, v15, 2.0, v67 op_sel_hi:[1,0,1] neg_lo:[0,0,1] neg_hi:[0,0,1]
	v_pk_fma_f16 v68, v16, 2.0, v69 op_sel_hi:[1,0,1] neg_lo:[0,0,1] neg_hi:[0,0,1]
	;; [unrolled: 1-line block ×3, first 2 shown]
	s_barrier_wait -1
	global_inv scope:SCOPE_SE
	ds_store_b64 v35, v[66:67]
	ds_store_b64 v40, v[68:69]
	s_and_saveexec_b32 s1, vcc_lo
	s_cbranch_execz .LBB0_33
; %bb.32:
	ds_store_b64 v34, v[13:14]
.LBB0_33:
	s_wait_alu 0xfffe
	s_or_b32 exec_lo, exec_lo, s1
	v_add_nc_u32_e32 v17, 0x880, v20
	global_wb scope:SCOPE_SE
	s_wait_dscnt 0x0
	s_barrier_signal -1
	s_barrier_wait -1
	global_inv scope:SCOPE_SE
	ds_load_2addr_b32 v[15:16], v20 offset1:224
	ds_load_2addr_b32 v[17:18], v17 offset0:16 offset1:240
	s_and_saveexec_b32 s1, vcc_lo
	s_cbranch_execz .LBB0_35
; %bb.34:
	ds_load_b32 v13, v20 offset:1792
	ds_load_b32 v14, v20 offset:4032
.LBB0_35:
	s_wait_alu 0xfffe
	s_or_b32 exec_lo, exec_lo, s1
	s_wait_dscnt 0x0
	v_lshrrev_b32_e32 v34, 16, v17
	v_lshrrev_b32_e32 v40, 16, v18
	v_pk_mul_f16 v67, v32, v14 op_sel:[0,1]
	v_mul_f16_e32 v69, v43, v17
	v_lshrrev_b32_e32 v35, 16, v15
	v_mul_f16_e32 v68, v43, v34
	v_mul_f16_e32 v70, v43, v40
	;; [unrolled: 1-line block ×3, first 2 shown]
	v_pk_fma_f16 v71, v32, v14, v67 op_sel:[0,0,1] op_sel_hi:[1,1,0]
	v_pk_fma_f16 v14, v32, v14, v67 op_sel:[0,0,1] op_sel_hi:[1,0,0] neg_lo:[1,0,0] neg_hi:[1,0,0]
	v_fmac_f16_e32 v68, v32, v17
	v_fma_f16 v17, v32, v34, -v69
	v_lshrrev_b32_e32 v66, 16, v16
	v_fmac_f16_e32 v70, v32, v18
	v_fma_f16 v18, v32, v40, -v43
	v_bfi_b32 v14, 0xffff, v71, v14
	v_sub_f16_e32 v32, v15, v68
	v_sub_f16_e32 v34, v35, v17
	;; [unrolled: 1-line block ×4, first 2 shown]
	v_pk_add_f16 v18, v13, v14 neg_lo:[0,1] neg_hi:[0,1]
	v_fma_f16 v14, v15, 2.0, -v32
	v_fma_f16 v15, v35, 2.0, -v34
	;; [unrolled: 1-line block ×4, first 2 shown]
	v_pk_fma_f16 v17, v13, 2.0, v18 op_sel_hi:[1,0,1] neg_lo:[0,0,1] neg_hi:[0,0,1]
	global_wb scope:SCOPE_SE
	v_pack_b32_f16 v13, v14, v15
	v_pack_b32_f16 v14, v32, v34
	;; [unrolled: 1-line block ×4, first 2 shown]
	s_barrier_signal -1
	s_barrier_wait -1
	global_inv scope:SCOPE_SE
	ds_store_2addr_b32 v36, v13, v14 offset1:2
	ds_store_2addr_b32 v37, v15, v16 offset1:2
	s_and_saveexec_b32 s1, vcc_lo
	s_cbranch_execz .LBB0_37
; %bb.36:
	v_and_or_b32 v13, 0x7fc, v30, v31
	s_delay_alu instid0(VALU_DEP_1)
	v_lshlrev_b32_e32 v13, 2, v13
	ds_store_2addr_b32 v13, v17, v18 offset1:2
.LBB0_37:
	s_wait_alu 0xfffe
	s_or_b32 exec_lo, exec_lo, s1
	v_add_nc_u32_e32 v15, 0x880, v20
	global_wb scope:SCOPE_SE
	s_wait_dscnt 0x0
	s_barrier_signal -1
	s_barrier_wait -1
	global_inv scope:SCOPE_SE
	ds_load_2addr_b32 v[13:14], v20 offset1:224
	ds_load_2addr_b32 v[15:16], v15 offset0:16 offset1:240
	s_and_saveexec_b32 s1, vcc_lo
	s_cbranch_execz .LBB0_39
; %bb.38:
	ds_load_b32 v17, v20 offset:1792
	ds_load_b32 v18, v20 offset:4032
.LBB0_39:
	s_wait_alu 0xfffe
	s_or_b32 exec_lo, exec_lo, s1
	s_wait_dscnt 0x0
	v_lshrrev_b32_e32 v31, 16, v15
	v_lshrrev_b32_e32 v32, 16, v16
	v_mul_f16_e32 v36, v46, v15
	v_lshrrev_b32_e32 v43, 16, v18
	v_mul_f16_e32 v40, v46, v16
	v_mul_f16_e32 v37, v46, v31
	v_lshrrev_b32_e32 v34, 16, v13
	v_mul_f16_e32 v66, v46, v18
	v_fma_f16 v31, v39, v31, -v36
	v_mul_f16_e32 v36, v46, v43
	v_fmac_f16_e32 v37, v39, v15
	v_mul_f16_e32 v15, v46, v32
	v_lshrrev_b32_e32 v35, 16, v14
	v_fma_f16 v32, v39, v32, -v40
	v_lshrrev_b32_e32 v67, 16, v17
	v_sub_f16_e32 v37, v13, v37
	v_fmac_f16_e32 v15, v39, v16
	v_fma_f16 v16, v39, v43, -v66
	v_fmac_f16_e32 v36, v39, v18
	v_sub_f16_e32 v39, v34, v31
	v_sub_f16_e32 v40, v35, v32
	;; [unrolled: 1-line block ×3, first 2 shown]
	v_fma_f16 v13, v13, 2.0, -v37
	v_sub_f16_e32 v18, v17, v36
	v_sub_f16_e32 v32, v67, v16
	v_fma_f16 v16, v34, 2.0, -v39
	v_fma_f16 v14, v14, 2.0, -v15
	;; [unrolled: 1-line block ×5, first 2 shown]
	v_pack_b32_f16 v13, v13, v16
	v_pack_b32_f16 v16, v37, v39
	;; [unrolled: 1-line block ×4, first 2 shown]
	global_wb scope:SCOPE_SE
	s_barrier_signal -1
	s_barrier_wait -1
	global_inv scope:SCOPE_SE
	ds_store_2addr_b32 v41, v13, v16 offset1:4
	ds_store_2addr_b32 v42, v14, v15 offset1:4
	s_and_saveexec_b32 s1, vcc_lo
	s_cbranch_execz .LBB0_41
; %bb.40:
	v_and_or_b32 v13, 0x7f8, v30, v33
	v_perm_b32 v14, v31, v17, 0x5040100
	v_perm_b32 v15, v32, v18, 0x5040100
	s_delay_alu instid0(VALU_DEP_3)
	v_lshlrev_b32_e32 v13, 2, v13
	ds_store_2addr_b32 v13, v14, v15 offset1:4
.LBB0_41:
	s_wait_alu 0xfffe
	s_or_b32 exec_lo, exec_lo, s1
	v_add_nc_u32_e32 v15, 0x880, v20
	global_wb scope:SCOPE_SE
	s_wait_dscnt 0x0
	s_barrier_signal -1
	s_barrier_wait -1
	global_inv scope:SCOPE_SE
	ds_load_2addr_b32 v[13:14], v20 offset1:224
	ds_load_2addr_b32 v[15:16], v15 offset0:16 offset1:240
	s_and_saveexec_b32 s1, vcc_lo
	s_cbranch_execz .LBB0_43
; %bb.42:
	ds_load_b32 v17, v20 offset:1792
	ds_load_b32 v18, v20 offset:4032
	s_wait_dscnt 0x1
	v_lshrrev_b32_e32 v31, 16, v17
	s_wait_dscnt 0x0
	v_lshrrev_b32_e32 v32, 16, v18
.LBB0_43:
	s_wait_alu 0xfffe
	s_or_b32 exec_lo, exec_lo, s1
	s_wait_dscnt 0x0
	v_lshrrev_b32_e32 v33, 16, v15
	v_lshrrev_b32_e32 v36, 16, v16
	v_mul_f16_e32 v37, v53, v15
	v_mul_f16_e32 v40, v53, v16
	v_lshrrev_b32_e32 v34, 16, v13
	v_mul_f16_e32 v39, v53, v33
	v_mul_f16_e32 v43, v53, v36
	;; [unrolled: 1-line block ×4, first 2 shown]
	v_lshrrev_b32_e32 v35, 16, v14
	v_fmac_f16_e32 v39, v45, v15
	v_fma_f16 v15, v45, v33, -v37
	v_fma_f16 v33, v45, v36, -v40
	v_fmac_f16_e32 v43, v45, v16
	v_fmac_f16_e32 v41, v45, v18
	v_sub_f16_e32 v16, v13, v39
	v_fma_f16 v18, v45, v32, -v42
	v_sub_f16_e32 v15, v34, v15
	v_sub_f16_e32 v36, v35, v33
	;; [unrolled: 1-line block ×3, first 2 shown]
	v_fma_f16 v13, v13, 2.0, -v16
	v_sub_f16_e32 v33, v17, v41
	v_sub_f16_e32 v32, v31, v18
	v_fma_f16 v34, v34, 2.0, -v15
	v_fma_f16 v14, v14, 2.0, -v37
	;; [unrolled: 1-line block ×5, first 2 shown]
	v_pack_b32_f16 v13, v13, v34
	v_pack_b32_f16 v15, v16, v15
	;; [unrolled: 1-line block ×4, first 2 shown]
	global_wb scope:SCOPE_SE
	s_barrier_signal -1
	s_barrier_wait -1
	global_inv scope:SCOPE_SE
	ds_store_2addr_b32 v47, v13, v15 offset1:8
	ds_store_2addr_b32 v48, v14, v16 offset1:8
	s_and_saveexec_b32 s1, vcc_lo
	s_cbranch_execz .LBB0_45
; %bb.44:
	v_and_or_b32 v13, 0x7f0, v30, v38
	v_perm_b32 v14, v31, v18, 0x5040100
	v_perm_b32 v15, v32, v33, 0x5040100
	s_delay_alu instid0(VALU_DEP_3)
	v_lshlrev_b32_e32 v13, 2, v13
	ds_store_2addr_b32 v13, v14, v15 offset1:8
.LBB0_45:
	s_wait_alu 0xfffe
	s_or_b32 exec_lo, exec_lo, s1
	v_add_nc_u32_e32 v15, 0x880, v20
	global_wb scope:SCOPE_SE
	s_wait_dscnt 0x0
	s_barrier_signal -1
	s_barrier_wait -1
	global_inv scope:SCOPE_SE
	ds_load_2addr_b32 v[13:14], v20 offset1:224
	ds_load_2addr_b32 v[15:16], v15 offset0:16 offset1:240
	s_and_saveexec_b32 s1, vcc_lo
	s_cbranch_execz .LBB0_47
; %bb.46:
	ds_load_b32 v18, v20 offset:1792
	ds_load_b32 v33, v20 offset:4032
	s_wait_dscnt 0x1
	v_lshrrev_b32_e32 v31, 16, v18
	s_wait_dscnt 0x0
	v_lshrrev_b32_e32 v32, 16, v33
.LBB0_47:
	s_wait_alu 0xfffe
	s_or_b32 exec_lo, exec_lo, s1
	s_wait_dscnt 0x0
	v_lshrrev_b32_e32 v17, 16, v15
	v_lshrrev_b32_e32 v35, 16, v16
	v_mul_f16_e32 v37, v54, v15
	v_mul_f16_e32 v39, v54, v16
	v_lshrrev_b32_e32 v34, 16, v13
	v_mul_f16_e32 v38, v54, v17
	v_mul_f16_e32 v40, v54, v35
	;; [unrolled: 1-line block ×3, first 2 shown]
	v_lshrrev_b32_e32 v36, 16, v14
	v_mul_f16_e32 v42, v54, v33
	v_fmac_f16_e32 v38, v49, v15
	v_fma_f16 v15, v49, v17, -v37
	v_fmac_f16_e32 v40, v49, v16
	v_fma_f16 v16, v49, v35, -v39
	v_fmac_f16_e32 v41, v49, v33
	v_sub_f16_e32 v33, v13, v38
	v_sub_f16_e32 v15, v34, v15
	;; [unrolled: 1-line block ×4, first 2 shown]
	v_fma_f16 v17, v49, v32, -v42
	v_fma_f16 v13, v13, 2.0, -v33
	v_fma_f16 v32, v34, 2.0, -v15
	;; [unrolled: 1-line block ×4, first 2 shown]
	v_sub_f16_e32 v14, v18, v41
	v_sub_f16_e32 v17, v31, v17
	v_pack_b32_f16 v13, v13, v32
	v_pack_b32_f16 v15, v33, v15
	;; [unrolled: 1-line block ×4, first 2 shown]
	global_wb scope:SCOPE_SE
	s_barrier_signal -1
	s_barrier_wait -1
	global_inv scope:SCOPE_SE
	ds_store_2addr_b32 v51, v13, v15 offset1:16
	ds_store_2addr_b32 v52, v32, v16 offset1:16
	s_and_saveexec_b32 s1, vcc_lo
	s_cbranch_execz .LBB0_49
; %bb.48:
	v_fma_f16 v13, v18, 2.0, -v14
	v_and_or_b32 v15, 0x7e0, v30, v44
	v_fma_f16 v16, v31, 2.0, -v17
	s_delay_alu instid0(VALU_DEP_2) | instskip(NEXT) | instid1(VALU_DEP_2)
	v_lshlrev_b32_e32 v15, 2, v15
	v_pack_b32_f16 v13, v13, v16
	v_perm_b32 v16, v17, v14, 0x5040100
	ds_store_2addr_b32 v15, v13, v16 offset1:16
.LBB0_49:
	s_wait_alu 0xfffe
	s_or_b32 exec_lo, exec_lo, s1
	v_add_nc_u32_e32 v13, 0x700, v20
	global_wb scope:SCOPE_SE
	s_wait_dscnt 0x0
	s_barrier_signal -1
	s_barrier_wait -1
	global_inv scope:SCOPE_SE
	ds_load_2addr_b32 v[15:16], v20 offset1:224
	ds_load_b32 v32, v20 offset:3584
	ds_load_2addr_b32 v[30:31], v13 offset1:224
	global_wb scope:SCOPE_SE
	s_wait_dscnt 0x0
	s_barrier_signal -1
	s_barrier_wait -1
	global_inv scope:SCOPE_SE
	v_lshrrev_b32_e32 v13, 16, v16
	v_lshrrev_b32_e32 v33, 16, v32
	v_mul_f16_e32 v35, v63, v32
	v_lshrrev_b32_e32 v36, 16, v30
	v_lshrrev_b32_e32 v37, 16, v31
	v_mul_f16_e32 v34, v62, v16
	v_mul_f16_e32 v38, v62, v13
	;; [unrolled: 1-line block ×3, first 2 shown]
	v_fma_f16 v33, v3, v33, -v35
	v_mul_f16_e32 v35, v61, v36
	v_mul_f16_e32 v41, v60, v37
	v_fma_f16 v34, v0, v13, -v34
	v_mul_f16_e32 v13, v61, v30
	v_mul_f16_e32 v39, v60, v31
	v_fmac_f16_e32 v38, v0, v16
	v_fmac_f16_e32 v40, v3, v32
	;; [unrolled: 1-line block ×4, first 2 shown]
	v_lshrrev_b32_e32 v18, 16, v15
	v_fma_f16 v36, v1, v36, -v13
	v_fma_f16 v37, v2, v37, -v39
	v_add_f16_e32 v2, v38, v40
	v_add_f16_e32 v13, v35, v41
	;; [unrolled: 1-line block ×4, first 2 shown]
	v_sub_f16_e32 v31, v36, v37
	v_sub_f16_e32 v3, v34, v33
	v_fma_f16 v13, -0.5, v13, v15
	v_fmac_f16_e32 v15, -0.5, v2
	v_add_f16_e32 v32, v0, v36
	v_add_f16_e32 v0, v36, v37
	;; [unrolled: 1-line block ×3, first 2 shown]
	v_sub_f16_e32 v39, v38, v40
	v_fmamk_f16 v2, v31, 0x3b9c, v15
	v_fmac_f16_e32 v15, 0xbb9c, v31
	v_sub_f16_e32 v30, v38, v35
	v_sub_f16_e32 v38, v35, v38
	;; [unrolled: 1-line block ×3, first 2 shown]
	v_fma_f16 v16, -0.5, v0, v18
	v_add_f16_e32 v0, v1, v41
	v_fmamk_f16 v1, v3, 0xbb9c, v13
	v_fmac_f16_e32 v13, 0x3b9c, v3
	v_fmac_f16_e32 v2, 0xb8b4, v3
	;; [unrolled: 1-line block ×3, first 2 shown]
	v_add_f16_e32 v3, v34, v33
	v_sub_f16_e32 v42, v40, v41
	v_add_f16_e32 v38, v38, v43
	v_fmac_f16_e32 v1, 0xb8b4, v31
	v_fmac_f16_e32 v13, 0x38b4, v31
	v_sub_f16_e32 v31, v35, v41
	v_fmac_f16_e32 v18, -0.5, v3
	v_add_f16_e32 v42, v30, v42
	v_fmamk_f16 v30, v39, 0x3b9c, v16
	v_fmac_f16_e32 v2, 0x34f2, v38
	v_fmac_f16_e32 v15, 0x34f2, v38
	v_sub_f16_e32 v3, v34, v36
	v_sub_f16_e32 v38, v33, v37
	v_add_f16_e32 v35, v32, v37
	v_fmamk_f16 v32, v31, 0xbb9c, v18
	v_sub_f16_e32 v34, v36, v34
	v_sub_f16_e32 v36, v37, v33
	v_fmac_f16_e32 v18, 0x3b9c, v31
	v_fmac_f16_e32 v16, 0xbb9c, v39
	;; [unrolled: 1-line block ×3, first 2 shown]
	v_add_f16_e32 v3, v3, v38
	v_fmac_f16_e32 v32, 0x38b4, v39
	v_add_f16_e32 v34, v34, v36
	v_fmac_f16_e32 v18, 0xb8b4, v39
	v_fmac_f16_e32 v16, 0xb8b4, v31
	v_add_f16_e32 v0, v0, v40
	v_fmac_f16_e32 v1, 0x34f2, v42
	v_add_f16_e32 v31, v35, v33
	v_fmac_f16_e32 v30, 0x34f2, v3
	v_fmac_f16_e32 v32, 0x34f2, v34
	;; [unrolled: 1-line block ×5, first 2 shown]
	v_pack_b32_f16 v3, v0, v31
	v_pack_b32_f16 v33, v1, v30
	;; [unrolled: 1-line block ×5, first 2 shown]
	ds_store_2addr_b32 v50, v3, v33 offset1:32
	ds_store_2addr_b32 v50, v34, v35 offset0:64 offset1:96
	ds_store_b32 v50, v36 offset:512
	v_lshrrev_b32_e32 v33, 16, v65
	global_wb scope:SCOPE_SE
	s_wait_dscnt 0x0
	s_barrier_signal -1
	s_barrier_wait -1
	global_inv scope:SCOPE_SE
	s_and_saveexec_b32 s1, s0
	s_cbranch_execz .LBB0_51
; %bb.50:
	v_add_nc_u32_e32 v2, 0x400, v20
	v_add_nc_u32_e32 v13, 0xa00, v20
	ds_load_2addr_b32 v[0:1], v20 offset1:160
	ds_load_b32 v64, v20 offset:3840
	ds_load_2addr_b32 v[2:3], v2 offset0:64 offset1:224
	ds_load_2addr_b32 v[13:14], v13 offset1:160
	s_wait_dscnt 0x3
	v_lshrrev_b32_e32 v31, 16, v0
	s_wait_dscnt 0x1
	v_mov_b32_e32 v15, v3
	v_lshrrev_b32_e32 v30, 16, v1
	v_lshrrev_b32_e32 v33, 16, v64
	;; [unrolled: 1-line block ×4, first 2 shown]
	s_wait_dscnt 0x0
	v_lshrrev_b32_e32 v16, 16, v13
	v_lshrrev_b32_e32 v17, 16, v14
.LBB0_51:
	s_wait_alu 0xfffe
	s_or_b32 exec_lo, exec_lo, s1
	s_and_saveexec_b32 s1, s0
	s_cbranch_execz .LBB0_53
; %bb.52:
	v_mul_f16_e32 v35, v58, v30
	v_mul_f16_e32 v3, v55, v16
	;; [unrolled: 1-line block ×5, first 2 shown]
	v_fmac_f16_e32 v35, v4, v1
	v_mul_f16_e32 v1, v58, v1
	v_mul_f16_e32 v34, v19, v18
	v_fmac_f16_e32 v3, v7, v13
	v_fmac_f16_e32 v36, v12, v64
	;; [unrolled: 1-line block ×3, first 2 shown]
	v_mul_f16_e32 v40, v57, v17
	v_fma_f16 v12, v12, v33, -v38
	v_mul_f16_e32 v33, v57, v14
	v_mul_f16_e32 v2, v56, v2
	v_fma_f16 v1, v4, v30, -v1
	v_mul_f16_e32 v4, v19, v15
	v_mul_f16_e32 v13, v55, v13
	v_fmac_f16_e32 v34, v6, v15
	v_fma_f16 v15, v11, v17, -v33
	v_fma_f16 v2, v5, v32, -v2
	v_fmac_f16_e32 v40, v11, v14
	v_fma_f16 v4, v6, v18, -v4
	v_fma_f16 v5, v7, v16, -v13
	v_add_f16_e32 v6, v12, v1
	v_add_f16_e32 v7, v15, v2
	v_sub_f16_e32 v14, v35, v36
	v_add_f16_e32 v35, v36, v35
	v_add_f16_e32 v13, v5, v4
	;; [unrolled: 1-line block ×3, first 2 shown]
	v_sub_f16_e32 v39, v3, v34
	v_sub_f16_e32 v11, v37, v40
	v_add_f16_e32 v3, v3, v34
	v_sub_f16_e32 v4, v5, v4
	v_sub_f16_e32 v2, v2, v15
	;; [unrolled: 1-line block ×3, first 2 shown]
	v_add_f16_e32 v16, v7, v6
	v_sub_f16_e32 v18, v6, v13
	v_add_f16_e32 v34, v36, v35
	v_sub_f16_e32 v17, v39, v11
	;; [unrolled: 2-line block ×3, first 2 shown]
	v_sub_f16_e32 v12, v4, v2
	v_sub_f16_e32 v37, v1, v4
	v_add_f16_e32 v4, v4, v2
	v_sub_f16_e32 v11, v11, v14
	v_add_f16_e32 v16, v13, v16
	v_mul_f16_e32 v18, 0x3a52, v18
	v_sub_f16_e32 v13, v13, v7
	v_add_f16_e32 v34, v3, v34
	v_sub_f16_e32 v19, v14, v39
	v_mul_f16_e32 v17, 0x3846, v17
	v_mul_f16_e32 v5, 0x3a52, v5
	v_sub_f16_e32 v3, v3, v36
	v_add_f16_e32 v4, v4, v1
	v_mul_f16_e32 v39, 0xbb00, v11
	v_sub_f16_e32 v1, v2, v1
	v_add_f16_e32 v31, v31, v16
	v_fmamk_f16 v33, v13, 0x2b26, v18
	v_mul_f16_e32 v13, 0x2b26, v13
	v_add_f16_e32 v0, v0, v34
	v_mul_f16_e32 v12, 0x3846, v12
	v_sub_f16_e32 v6, v7, v6
	v_fmamk_f16 v32, v19, 0xb574, v17
	v_add_f16_e32 v30, v30, v14
	v_fmamk_f16 v14, v3, 0x2b26, v5
	v_mul_f16_e32 v3, 0x2b26, v3
	v_fma_f16 v2, v19, 0x3574, -v39
	v_sub_f16_e32 v7, v36, v35
	v_mul_f16_e32 v19, 0xbb00, v1
	v_fmamk_f16 v16, v16, 0xbcab, v31
	v_fmamk_f16 v34, v34, 0xbcab, v0
	v_fmamk_f16 v38, v37, 0xb574, v12
	v_fma_f16 v18, v6, 0xb9e0, -v18
	v_fma_f16 v6, v6, 0x39e0, -v13
	;; [unrolled: 1-line block ×7, first 2 shown]
	v_fmac_f16_e32 v32, 0xb70e, v30
	v_add_f16_e32 v33, v33, v16
	v_add_f16_e32 v14, v14, v34
	v_fmac_f16_e32 v38, 0xb70e, v4
	v_add_f16_e32 v6, v6, v16
	v_fmac_f16_e32 v11, 0xb70e, v30
	v_fmac_f16_e32 v2, 0xb70e, v30
	v_add_f16_e32 v13, v18, v16
	v_add_f16_e32 v5, v5, v34
	v_fmac_f16_e32 v19, 0xb70e, v4
	v_fmac_f16_e32 v1, 0xb70e, v4
	v_add_f16_e32 v3, v3, v34
	v_sub_f16_e32 v16, v6, v11
	v_add_f16_e32 v4, v11, v6
	v_sub_f16_e32 v6, v33, v32
	v_add_f16_e32 v11, v38, v14
	v_add_f16_e32 v7, v2, v13
	v_sub_f16_e32 v12, v5, v19
	v_sub_f16_e32 v2, v13, v2
	v_add_f16_e32 v5, v19, v5
	v_sub_f16_e32 v13, v3, v1
	v_add_f16_e32 v1, v1, v3
	v_add_f16_e32 v15, v32, v33
	v_sub_f16_e32 v35, v14, v38
	v_pack_b32_f16 v0, v0, v31
	v_pack_b32_f16 v3, v11, v6
	;; [unrolled: 1-line block ×4, first 2 shown]
	v_add_nc_u32_e32 v5, 0x400, v20
	v_pack_b32_f16 v1, v1, v16
	v_pack_b32_f16 v6, v12, v7
	v_add_nc_u32_e32 v7, 0xa00, v20
	v_pack_b32_f16 v11, v35, v15
	ds_store_2addr_b32 v20, v0, v3 offset1:160
	ds_store_2addr_b32 v5, v2, v4 offset0:64 offset1:224
	ds_store_2addr_b32 v7, v1, v6 offset1:160
	ds_store_b32 v20, v11 offset:3840
.LBB0_53:
	s_wait_alu 0xfffe
	s_or_b32 exec_lo, exec_lo, s1
	global_wb scope:SCOPE_SE
	s_wait_dscnt 0x0
	s_barrier_signal -1
	s_barrier_wait -1
	global_inv scope:SCOPE_SE
	ds_load_2addr_b32 v[0:1], v20 offset1:224
	v_add_nc_u32_e32 v2, 0x880, v20
	s_mov_b32 s6, 0x1d41d41d
	s_mov_b32 s7, 0x3f4d41d4
	v_mad_co_u64_u32 v[17:18], null, s8, v22, 0
	ds_load_2addr_b32 v[2:3], v2 offset0:16 offset1:240
	s_wait_dscnt 0x1
	v_lshrrev_b32_e32 v4, 16, v0
	v_mul_f16_e32 v5, v29, v0
	v_lshrrev_b32_e32 v15, 16, v1
	s_delay_alu instid0(VALU_DEP_3) | instskip(NEXT) | instid1(VALU_DEP_3)
	v_mul_f16_e32 v6, v29, v4
	v_fma_f16 v4, v25, v4, -v5
	s_wait_dscnt 0x0
	v_lshrrev_b32_e32 v11, 16, v2
	v_mul_f16_e32 v7, v28, v2
	v_mul_f16_e32 v12, v26, v15
	v_fmac_f16_e32 v6, v25, v0
	v_cvt_f32_f16_e32 v0, v4
	v_mul_f16_e32 v16, v28, v11
	s_delay_alu instid0(VALU_DEP_4) | instskip(NEXT) | instid1(VALU_DEP_4)
	v_fmac_f16_e32 v12, v24, v1
	v_cvt_f32_f16_e32 v6, v6
	s_delay_alu instid0(VALU_DEP_4)
	v_cvt_f64_f32_e32 v[4:5], v0
	v_fma_f16 v0, v27, v11, -v7
	v_fmac_f16_e32 v16, v27, v2
	v_cvt_f32_f16_e32 v13, v12
	v_mul_f16_e32 v2, v26, v1
	v_cvt_f64_f32_e32 v[6:7], v6
	v_cvt_f32_f16_e32 v0, v0
	s_delay_alu instid0(VALU_DEP_4) | instskip(NEXT) | instid1(VALU_DEP_4)
	v_cvt_f64_f32_e32 v[13:14], v13
	v_fma_f16 v2, v24, v15, -v2
	s_delay_alu instid0(VALU_DEP_3) | instskip(SKIP_2) | instid1(VALU_DEP_4)
	v_cvt_f64_f32_e32 v[11:12], v0
	v_cvt_f32_f16_e32 v0, v16
	v_mad_co_u64_u32 v[15:16], null, s10, v10, 0
	v_cvt_f32_f16_e32 v2, v2
	s_delay_alu instid0(VALU_DEP_3) | instskip(NEXT) | instid1(VALU_DEP_2)
	v_cvt_f64_f32_e32 v[0:1], v0
	v_cvt_f64_f32_e32 v[24:25], v2
	s_delay_alu instid0(VALU_DEP_4) | instskip(SKIP_4) | instid1(VALU_DEP_3)
	v_mov_b32_e32 v2, v16
	s_wait_alu 0xfffe
	v_mul_f64_e32 v[4:5], s[6:7], v[4:5]
	v_mul_f64_e32 v[6:7], s[6:7], v[6:7]
	;; [unrolled: 1-line block ×3, first 2 shown]
	v_and_or_b32 v4, 0x1ff, v5, v4
	s_delay_alu instid0(VALU_DEP_3) | instskip(NEXT) | instid1(VALU_DEP_3)
	v_and_or_b32 v6, 0x1ff, v7, v6
	v_bfe_u32 v33, v1, 20, 11
	v_mov_b32_e32 v16, v18
	v_mad_co_u64_u32 v[18:19], null, s11, v10, v[2:3]
	v_mul_f64_e32 v[10:11], s[6:7], v[11:12]
	v_mul_f64_e32 v[12:13], s[6:7], v[13:14]
	v_lshrrev_b32_e32 v2, 16, v3
	v_mul_f16_e32 v14, v23, v3
	v_sub_nc_u32_e32 v36, 0x3f1, v33
	v_add_nc_u32_e32 v33, 0xfffffc10, v33
	v_mad_co_u64_u32 v[26:27], null, s9, v22, v[16:17]
	v_mul_f16_e32 v19, v23, v2
	v_mov_b32_e32 v16, v18
	v_fma_f16 v22, v21, v2, -v14
	v_lshrrev_b32_e32 v23, 8, v5
	v_and_or_b32 v0, 0x1ff, v1, v0
	v_fmac_f16_e32 v19, v21, v3
	v_lshlrev_b64_e32 v[2:3], 2, v[15:16]
	v_cvt_f32_f16_e32 v16, v22
	v_mov_b32_e32 v18, v26
	v_bfe_u32 v26, v7, 20, 11
	s_delay_alu instid0(VALU_DEP_4)
	v_add_co_u32 v21, s0, s4, v2
	s_wait_alu 0xf1ff
	v_add_co_ci_u32_e64 v22, s0, s5, v3, s0
	v_cmp_ne_u32_e64 s0, 0, v4
	v_lshlrev_b64_e32 v[14:15], 2, v[17:18]
	v_cvt_f32_f16_e32 v17, v19
	v_mul_f64_e32 v[18:19], s[6:7], v[24:25]
	v_bfe_u32 v24, v5, 20, 11
	s_wait_alu 0xf1ff
	v_cndmask_b32_e64 v4, 0, 1, s0
	v_cmp_ne_u32_e64 s0, 0, v6
	v_lshrrev_b32_e32 v25, 8, v7
	v_sub_nc_u32_e32 v32, 0x3f1, v26
	v_sub_nc_u32_e32 v27, 0x3f1, v24
	v_and_or_b32 v4, 0xffe, v23, v4
	s_wait_alu 0xf1ff
	v_cndmask_b32_e64 v6, 0, 1, s0
	v_add_nc_u32_e32 v24, 0xfffffc10, v24
	v_add_nc_u32_e32 v26, 0xfffffc10, v26
	v_and_or_b32 v10, 0x1ff, v11, v10
	v_and_or_b32 v12, 0x1ff, v13, v12
	v_bfe_u32 v29, v11, 20, 11
	v_and_or_b32 v6, 0xffe, v25, v6
	v_med3_i32 v25, v32, 0, 13
	v_cmp_ne_u32_e64 s0, 0, v10
	v_or_b32_e32 v32, 0x1000, v4
	v_lshl_or_b32 v35, v24, 12, v4
	v_lshrrev_b32_e32 v28, 8, v11
	v_med3_i32 v23, v27, 0, 13
	s_wait_alu 0xf1ff
	v_cndmask_b32_e64 v10, 0, 1, s0
	v_cmp_ne_u32_e64 s0, 0, v12
	v_lshrrev_b32_e32 v27, 8, v1
	v_sub_nc_u32_e32 v34, 0x3f1, v29
	v_lshrrev_b32_e32 v38, v23, v32
	v_and_or_b32 v10, 0xffe, v28, v10
	s_wait_alu 0xf1ff
	v_cndmask_b32_e64 v12, 0, 1, s0
	v_cmp_ne_u32_e64 s0, 0, v4
	v_med3_i32 v28, v34, 0, 13
	v_or_b32_e32 v34, 0x1000, v6
	v_lshl_or_b32 v37, v26, 12, v6
	v_lshlrev_b32_e32 v23, v23, v38
	s_wait_alu 0xf1ff
	v_cndmask_b32_e64 v4, 0, 1, s0
	v_cmp_ne_u32_e64 s0, 0, v0
	v_lshrrev_b32_e32 v40, v25, v34
	v_add_nc_u32_e32 v29, 0xfffffc10, v29
	v_cmp_gt_i32_e64 s4, 1, v33
	v_lshrrev_b32_e32 v7, 16, v7
	s_wait_alu 0xf1ff
	v_cndmask_b32_e64 v0, 0, 1, s0
	v_lshlrev_b32_e32 v25, v25, v40
	v_cmp_ne_u32_e64 s0, 0, v6
	v_lshl_or_b32 v39, v29, 12, v10
	v_lshl_or_b32 v4, v4, 9, 0x7c00
	v_and_or_b32 v0, 0xffe, v27, v0
	v_med3_i32 v27, v36, 0, 13
	s_wait_alu 0xf1ff
	v_cndmask_b32_e64 v6, 0, 1, s0
	v_or_b32_e32 v36, 0x1000, v10
	v_lshrrev_b32_e32 v5, 16, v5
	v_cmp_ne_u32_e64 s0, 0, v0
	v_or_b32_e32 v41, 0x1000, v0
	v_lshl_or_b32 v42, v33, 12, v0
	v_lshrrev_b32_e32 v43, v28, v36
	v_lshl_or_b32 v6, v6, 9, 0x7c00
	s_wait_alu 0xf1ff
	v_cndmask_b32_e64 v0, 0, 1, s0
	v_cmp_ne_u32_e64 s0, v23, v32
	v_lshrrev_b32_e32 v32, v27, v41
	v_lshlrev_b32_e32 v28, v28, v43
	v_cvt_f64_f32_e32 v[2:3], v16
	v_cvt_f64_f32_e32 v[16:17], v17
	s_wait_alu 0xf1ff
	v_cndmask_b32_e64 v23, 0, 1, s0
	v_cmp_ne_u32_e64 s0, v25, v34
	v_lshlrev_b32_e32 v27, v27, v32
	v_lshrrev_b32_e32 v30, 8, v13
	v_bfe_u32 v31, v13, 20, 11
	v_or_b32_e32 v23, v38, v23
	s_wait_alu 0xf1ff
	v_cndmask_b32_e64 v25, 0, 1, s0
	v_cmp_ne_u32_e64 s0, v28, v36
	v_lshl_or_b32 v0, v0, 9, 0x7c00
	v_and_or_b32 v18, 0x1ff, v19, v18
	v_lshrrev_b32_e32 v1, 16, v1
	v_or_b32_e32 v25, v40, v25
	s_wait_alu 0xf1ff
	v_cndmask_b32_e64 v28, 0, 1, s0
	v_cmp_gt_i32_e64 s0, 1, v24
	v_lshrrev_b32_e32 v11, 16, v11
	v_lshrrev_b32_e32 v13, 16, v13
	s_delay_alu instid0(VALU_DEP_4) | instskip(SKIP_3) | instid1(VALU_DEP_2)
	v_or_b32_e32 v28, v43, v28
	s_wait_alu 0xf1ff
	v_cndmask_b32_e64 v23, v35, v23, s0
	v_cmp_gt_i32_e64 s0, 1, v26
	v_and_b32_e32 v34, 7, v23
	s_wait_alu 0xf1ff
	s_delay_alu instid0(VALU_DEP_2) | instskip(SKIP_3) | instid1(VALU_DEP_4)
	v_cndmask_b32_e64 v25, v37, v25, s0
	v_cmp_ne_u32_e64 s0, v27, v41
	v_lshrrev_b32_e32 v23, 2, v23
	v_cmp_lt_i32_e64 s2, 5, v34
	v_and_b32_e32 v35, 7, v25
	s_wait_alu 0xf1ff
	v_cndmask_b32_e64 v27, 0, 1, s0
	v_cmp_gt_i32_e64 s0, 1, v29
	v_lshrrev_b32_e32 v25, 2, v25
	v_cmp_eq_u32_e64 s3, 3, v34
	v_cmp_eq_u32_e64 s1, 3, v35
	v_or_b32_e32 v27, v32, v27
	s_wait_alu 0xf1ff
	v_cndmask_b32_e64 v28, v39, v28, s0
	v_cmp_lt_i32_e64 s0, 5, v35
	v_mul_f64_e32 v[2:3], s[6:7], v[2:3]
	v_cndmask_b32_e64 v27, v42, v27, s4
	s_movk_i32 s4, 0xfeb0
	s_delay_alu instid0(VALU_DEP_3)
	s_or_b32 s0, s1, s0
	s_mov_b32 s5, -1
	s_wait_alu 0xfffe
	v_add_co_ci_u32_e64 v25, s0, 0, v25, s0
	s_or_b32 s0, s3, s2
	v_and_b32_e32 v32, 7, v27
	s_wait_alu 0xfffe
	v_add_co_ci_u32_e64 v23, s0, 0, v23, s0
	v_cmp_gt_i32_e64 s0, 31, v26
	v_cmp_eq_u32_e64 s2, 0x40f, v26
	v_cmp_eq_u32_e64 s1, 3, v32
	v_lshrrev_b32_e32 v27, 2, v27
	s_wait_alu 0xf1ff
	v_cndmask_b32_e64 v25, 0x7c00, v25, s0
	v_cmp_gt_i32_e64 s0, 31, v24
	s_delay_alu instid0(VALU_DEP_2) | instskip(SKIP_1) | instid1(VALU_DEP_2)
	v_cndmask_b32_e64 v6, v25, v6, s2
	s_wait_alu 0xf1ff
	v_cndmask_b32_e64 v23, 0x7c00, v23, s0
	v_cmp_lt_i32_e64 s0, 5, v32
	v_cmp_eq_u32_e64 s2, 0x40f, v24
	v_bfe_u32 v25, v19, 20, 11
	v_and_or_b32 v6, 0x8000, v7, v6
	v_and_b32_e32 v7, 7, v28
	s_or_b32 s0, s1, s0
	v_cndmask_b32_e64 v4, v23, v4, s2
	s_wait_alu 0xfffe
	v_add_co_ci_u32_e64 v23, s0, 0, v27, s0
	v_cmp_gt_i32_e64 s0, 31, v33
	v_and_b32_e32 v6, 0xffff, v6
	v_and_or_b32 v4, 0x8000, v5, v4
	v_cmp_eq_u32_e64 s1, 3, v7
	v_cmp_eq_u32_e64 s2, 0x40f, v33
	s_wait_alu 0xf1ff
	v_cndmask_b32_e64 v5, 0x7c00, v23, s0
	v_cmp_lt_i32_e64 s0, 5, v7
	v_lshl_or_b32 v23, v4, 16, v6
	v_lshrrev_b32_e32 v4, 2, v28
	v_and_or_b32 v6, 0xffe, v30, v12
	v_cndmask_b32_e64 v0, v5, v0, s2
	s_or_b32 s0, s1, s0
	v_sub_nc_u32_e32 v5, 0x3f1, v31
	s_wait_alu 0xfffe
	v_add_co_ci_u32_e64 v4, s0, 0, v4, s0
	v_cmp_ne_u32_e64 s0, 0, v10
	v_or_b32_e32 v10, 0x1000, v6
	v_med3_i32 v5, v5, 0, 13
	v_and_or_b32 v24, 0x8000, v1, v0
	v_mul_f64_e32 v[0:1], s[6:7], v[16:17]
	s_wait_alu 0xf1ff
	v_cndmask_b32_e64 v7, 0, 1, s0
	v_cmp_gt_i32_e64 s0, 31, v29
	v_lshrrev_b32_e32 v12, v5, v10
	v_sub_nc_u32_e32 v16, 0x3f1, v25
	v_and_or_b32 v2, 0x1ff, v3, v2
	v_lshl_or_b32 v7, v7, 9, 0x7c00
	s_wait_alu 0xf1ff
	v_cndmask_b32_e64 v4, 0x7c00, v4, s0
	v_cmp_eq_u32_e64 s0, 0x40f, v29
	v_lshlrev_b32_e32 v5, v5, v12
	v_med3_i32 v16, v16, 0, 13
	s_wait_alu 0xf1ff
	s_delay_alu instid0(VALU_DEP_3) | instskip(SKIP_3) | instid1(VALU_DEP_4)
	v_cndmask_b32_e64 v4, v4, v7, s0
	v_cmp_ne_u32_e64 s0, 0, v18
	v_lshrrev_b32_e32 v18, 8, v19
	v_lshrrev_b32_e32 v19, 16, v19
	v_and_or_b32 v11, 0x8000, v11, v4
	s_wait_alu 0xf1ff
	v_cndmask_b32_e64 v7, 0, 1, s0
	v_cmp_ne_u32_e64 s0, v5, v10
	v_add_nc_u32_e32 v10, 0xfffffc10, v31
	s_delay_alu instid0(VALU_DEP_3) | instskip(SKIP_1) | instid1(VALU_DEP_3)
	v_and_or_b32 v7, 0xffe, v18, v7
	s_wait_alu 0xf1ff
	v_cndmask_b32_e64 v5, 0, 1, s0
	s_delay_alu instid0(VALU_DEP_3) | instskip(SKIP_2) | instid1(VALU_DEP_4)
	v_cmp_gt_i32_e64 s0, 1, v10
	v_and_b32_e32 v18, 0xffff, v24
	v_or_b32_e32 v17, 0x1000, v7
	v_or_b32_e32 v5, v12, v5
	v_lshl_or_b32 v12, v10, 12, v6
	s_delay_alu instid0(VALU_DEP_4)
	v_lshl_or_b32 v11, v11, 16, v18
	v_bfe_u32 v18, v3, 20, 11
	v_lshrrev_b32_e32 v24, v16, v17
	s_wait_alu 0xf1ff
	v_cndmask_b32_e64 v12, v12, v5, s0
	v_add_co_u32 v4, s0, v21, v14
	s_wait_alu 0xf1ff
	v_add_co_ci_u32_e64 v5, s0, v22, v15, s0
	s_delay_alu instid0(VALU_DEP_3)
	v_and_b32_e32 v14, 7, v12
	s_mul_u64 s[0:1], s[8:9], 0x230
	v_lshrrev_b32_e32 v12, 2, v12
	s_wait_alu 0xfffe
	s_lshl_b64 s[10:11], s[0:1], 2
	v_lshlrev_b32_e32 v15, v16, v24
	v_cmp_lt_i32_e64 s0, 5, v14
	v_cmp_eq_u32_e64 s1, 3, v14
	v_and_or_b32 v0, 0x1ff, v1, v0
	s_delay_alu instid0(VALU_DEP_4) | instskip(SKIP_1) | instid1(VALU_DEP_4)
	v_cmp_ne_u32_e64 s2, v15, v17
	v_add_nc_u32_e32 v15, 0xfffffc10, v25
	s_or_b32 s0, s1, s0
	v_bfe_u32 v17, v1, 20, 11
	s_wait_alu 0xfffe
	v_add_co_ci_u32_e64 v12, s0, 0, v12, s0
	v_cmp_ne_u32_e64 s0, 0, v6
	v_cndmask_b32_e64 v14, 0, 1, s2
	v_lshl_or_b32 v16, v15, 12, v7
	s_wait_alu 0xf1ff
	s_delay_alu instid0(VALU_DEP_3) | instskip(SKIP_2) | instid1(VALU_DEP_3)
	v_cndmask_b32_e64 v6, 0, 1, s0
	v_cmp_gt_i32_e64 s0, 31, v10
	v_or_b32_e32 v14, v24, v14
	v_lshl_or_b32 v6, v6, 9, 0x7c00
	s_wait_alu 0xf1ff
	s_delay_alu instid0(VALU_DEP_3) | instskip(SKIP_2) | instid1(VALU_DEP_1)
	v_cndmask_b32_e64 v12, 0x7c00, v12, s0
	v_cmp_gt_i32_e64 s0, 1, v15
	s_wait_alu 0xf1ff
	v_cndmask_b32_e64 v14, v16, v14, s0
	v_cmp_ne_u32_e64 s0, 0, v0
	v_lshrrev_b32_e32 v16, 8, v1
	v_lshrrev_b32_e32 v1, 16, v1
	s_wait_alu 0xf1ff
	s_delay_alu instid0(VALU_DEP_3) | instskip(SKIP_1) | instid1(VALU_DEP_2)
	v_cndmask_b32_e64 v0, 0, 1, s0
	v_cmp_eq_u32_e64 s0, 0x40f, v10
	v_and_or_b32 v0, 0xffe, v16, v0
	s_wait_alu 0xf1ff
	s_delay_alu instid0(VALU_DEP_2)
	v_cndmask_b32_e64 v10, v12, v6, s0
	v_sub_nc_u32_e32 v12, 0x3f1, v17
	v_cmp_ne_u32_e64 s0, 0, v2
	v_and_b32_e32 v6, 7, v14
	v_lshrrev_b32_e32 v16, 8, v3
	v_or_b32_e32 v21, 0x1000, v0
	v_med3_i32 v12, v12, 0, 13
	s_wait_alu 0xf1ff
	v_cndmask_b32_e64 v2, 0, 1, s0
	v_cmp_lt_i32_e64 s0, 5, v6
	v_cmp_eq_u32_e64 s1, 3, v6
	v_lshrrev_b32_e32 v6, 2, v14
	v_lshrrev_b32_e32 v14, v12, v21
	v_and_or_b32 v2, 0xffe, v16, v2
	v_sub_nc_u32_e32 v16, 0x3f1, v18
	s_or_b32 s0, s1, s0
	v_add_nc_u32_e32 v17, 0xfffffc10, v17
	s_wait_alu 0xfffe
	v_add_co_ci_u32_e64 v6, s0, 0, v6, s0
	v_or_b32_e32 v22, 0x1000, v2
	v_med3_i32 v16, v16, 0, 13
	v_lshlrev_b32_e32 v12, v12, v14
	v_cmp_gt_i32_e64 s0, 31, v15
	v_add_nc_u32_e32 v18, 0xfffffc10, v18
	v_and_or_b32 v10, 0x8000, v13, v10
	v_lshrrev_b32_e32 v24, v16, v22
	v_lshrrev_b32_e32 v3, 16, v3
	s_wait_alu 0xf1ff
	v_cndmask_b32_e64 v6, 0x7c00, v6, s0
	v_cmp_ne_u32_e64 s0, v12, v21
	v_and_b32_e32 v10, 0xffff, v10
	v_lshlrev_b32_e32 v16, v16, v24
	s_wait_alu 0xf1ff
	s_delay_alu instid0(VALU_DEP_3) | instskip(SKIP_1) | instid1(VALU_DEP_2)
	v_cndmask_b32_e64 v12, 0, 1, s0
	v_cmp_ne_u32_e64 s0, 0, v7
	v_or_b32_e32 v12, v14, v12
	s_wait_alu 0xf1ff
	s_delay_alu instid0(VALU_DEP_2) | instskip(SKIP_2) | instid1(VALU_DEP_3)
	v_cndmask_b32_e64 v7, 0, 1, s0
	v_cmp_ne_u32_e64 s0, v16, v22
	v_lshl_or_b32 v14, v17, 12, v0
	v_lshl_or_b32 v7, v7, 9, 0x7c00
	s_wait_alu 0xf1ff
	s_delay_alu instid0(VALU_DEP_3) | instskip(SKIP_2) | instid1(VALU_DEP_1)
	v_cndmask_b32_e64 v16, 0, 1, s0
	v_cmp_gt_i32_e64 s0, 1, v17
	s_wait_alu 0xf1ff
	v_cndmask_b32_e64 v12, v14, v12, s0
	v_cmp_eq_u32_e64 s0, 0x40f, v15
	v_or_b32_e32 v14, v24, v16
	v_lshl_or_b32 v16, v18, 12, v2
	s_delay_alu instid0(VALU_DEP_4)
	v_and_b32_e32 v21, 7, v12
	s_wait_alu 0xf1ff
	v_cndmask_b32_e64 v15, v6, v7, s0
	v_cmp_gt_i32_e64 s0, 1, v18
	v_lshrrev_b32_e32 v12, 2, v12
	v_cmp_eq_u32_e64 s1, 3, v21
	s_delay_alu instid0(VALU_DEP_4)
	v_and_or_b32 v13, 0x8000, v19, v15
	s_wait_alu 0xf1ff
	v_cndmask_b32_e64 v14, v16, v14, s0
	v_add_co_u32 v6, s0, v4, s10
	s_wait_alu 0xf1ff
	v_add_co_ci_u32_e64 v7, s0, s11, v5, s0
	v_cmp_lt_i32_e64 s0, 5, v21
	v_and_b32_e32 v15, 7, v14
	v_lshrrev_b32_e32 v14, 2, v14
	v_lshl_or_b32 v10, v13, 16, v10
	s_delay_alu instid0(VALU_DEP_4) | instskip(NEXT) | instid1(VALU_DEP_3)
	s_or_b32 s0, s1, s0
	v_cmp_lt_i32_e64 s2, 5, v15
	s_wait_alu 0xfffe
	v_add_co_ci_u32_e64 v12, s0, 0, v12, s0
	v_cmp_eq_u32_e64 s3, 3, v15
	v_cmp_ne_u32_e64 s0, 0, v0
	s_wait_alu 0xf1ff
	s_delay_alu instid0(VALU_DEP_1) | instskip(NEXT) | instid1(VALU_DEP_3)
	v_cndmask_b32_e64 v0, 0, 1, s0
	s_or_b32 s0, s3, s2
	s_wait_alu 0xfffe
	v_add_co_ci_u32_e64 v14, s0, 0, v14, s0
	v_cmp_ne_u32_e64 s0, 0, v2
	v_lshl_or_b32 v0, v0, 9, 0x7c00
	s_wait_alu 0xf1ff
	s_delay_alu instid0(VALU_DEP_2) | instskip(SKIP_1) | instid1(VALU_DEP_2)
	v_cndmask_b32_e64 v2, 0, 1, s0
	v_cmp_gt_i32_e64 s0, 31, v17
	v_lshl_or_b32 v2, v2, 9, 0x7c00
	s_wait_alu 0xf1ff
	s_delay_alu instid0(VALU_DEP_2) | instskip(SKIP_2) | instid1(VALU_DEP_1)
	v_cndmask_b32_e64 v12, 0x7c00, v12, s0
	v_cmp_gt_i32_e64 s0, 31, v18
	s_wait_alu 0xf1ff
	v_cndmask_b32_e64 v14, 0x7c00, v14, s0
	v_cmp_eq_u32_e64 s0, 0x40f, v17
	s_wait_alu 0xf1ff
	s_delay_alu instid0(VALU_DEP_1) | instskip(SKIP_1) | instid1(VALU_DEP_2)
	v_cndmask_b32_e64 v0, v12, v0, s0
	v_cmp_eq_u32_e64 s0, 0x40f, v18
	v_and_or_b32 v0, 0x8000, v1, v0
	s_wait_alu 0xf1ff
	s_delay_alu instid0(VALU_DEP_2)
	v_cndmask_b32_e64 v2, v14, v2, s0
	s_mul_u64 s[0:1], s[8:9], s[4:5]
	s_wait_alu 0xfffe
	s_lshl_b64 s[8:9], s[0:1], 2
	v_and_b32_e32 v0, 0xffff, v0
	v_and_or_b32 v1, 0x8000, v3, v2
	s_wait_alu 0xfffe
	v_add_co_u32 v2, s0, v6, s8
	s_wait_alu 0xf1ff
	v_add_co_ci_u32_e64 v3, s0, s9, v7, s0
	v_lshl_or_b32 v12, v1, 16, v0
	s_delay_alu instid0(VALU_DEP_3) | instskip(SKIP_1) | instid1(VALU_DEP_3)
	v_add_co_u32 v0, s0, v2, s10
	s_wait_alu 0xf1ff
	v_add_co_ci_u32_e64 v1, s0, s11, v3, s0
	s_clause 0x3
	global_store_b32 v[4:5], v23, off
	global_store_b32 v[6:7], v11, off
	;; [unrolled: 1-line block ×4, first 2 shown]
	s_and_b32 exec_lo, exec_lo, vcc_lo
	s_cbranch_execz .LBB0_55
; %bb.54:
	s_clause 0x1
	global_load_b32 v2, v[8:9], off offset:1792
	global_load_b32 v4, v[8:9], off offset:4032
	ds_load_b32 v3, v20 offset:1792
	ds_load_b32 v5, v20 offset:4032
	s_wait_dscnt 0x1
	v_lshrrev_b32_e32 v6, 16, v3
	s_wait_dscnt 0x0
	v_lshrrev_b32_e32 v9, 16, v5
	s_wait_loadcnt 0x1
	v_lshrrev_b32_e32 v7, 16, v2
	s_wait_loadcnt 0x0
	v_lshrrev_b32_e32 v10, 16, v4
	s_delay_alu instid0(VALU_DEP_2) | instskip(SKIP_1) | instid1(VALU_DEP_3)
	v_mul_f16_e32 v8, v6, v7
	v_mul_f16_e32 v7, v3, v7
	;; [unrolled: 1-line block ×3, first 2 shown]
	s_delay_alu instid0(VALU_DEP_3) | instskip(NEXT) | instid1(VALU_DEP_3)
	v_fmac_f16_e32 v8, v3, v2
	v_fma_f16 v2, v2, v6, -v7
	v_mul_f16_e32 v6, v5, v10
	s_delay_alu instid0(VALU_DEP_4) | instskip(NEXT) | instid1(VALU_DEP_4)
	v_fmac_f16_e32 v11, v5, v4
	v_cvt_f32_f16_e32 v3, v8
	s_delay_alu instid0(VALU_DEP_4) | instskip(NEXT) | instid1(VALU_DEP_4)
	v_cvt_f32_f16_e32 v5, v2
	v_fma_f16 v6, v4, v9, -v6
	s_delay_alu instid0(VALU_DEP_4) | instskip(NEXT) | instid1(VALU_DEP_4)
	v_cvt_f32_f16_e32 v7, v11
	v_cvt_f64_f32_e32 v[2:3], v3
	s_delay_alu instid0(VALU_DEP_4) | instskip(NEXT) | instid1(VALU_DEP_4)
	v_cvt_f64_f32_e32 v[4:5], v5
	v_cvt_f32_f16_e32 v8, v6
	s_delay_alu instid0(VALU_DEP_4) | instskip(NEXT) | instid1(VALU_DEP_2)
	v_cvt_f64_f32_e32 v[6:7], v7
	v_cvt_f64_f32_e32 v[8:9], v8
	v_mul_f64_e32 v[2:3], s[6:7], v[2:3]
	v_mul_f64_e32 v[4:5], s[6:7], v[4:5]
	s_delay_alu instid0(VALU_DEP_4) | instskip(NEXT) | instid1(VALU_DEP_4)
	v_mul_f64_e32 v[6:7], s[6:7], v[6:7]
	v_mul_f64_e32 v[8:9], s[6:7], v[8:9]
	s_delay_alu instid0(VALU_DEP_4) | instskip(NEXT) | instid1(VALU_DEP_4)
	v_and_or_b32 v2, 0x1ff, v3, v2
	v_and_or_b32 v4, 0x1ff, v5, v4
	v_lshrrev_b32_e32 v10, 8, v3
	v_and_or_b32 v6, 0x1ff, v7, v6
	v_bfe_u32 v11, v3, 20, 11
	v_cmp_ne_u32_e32 vcc_lo, 0, v2
	v_lshrrev_b32_e32 v12, 8, v5
	v_and_or_b32 v8, 0x1ff, v9, v8
	v_bfe_u32 v13, v5, 20, 11
	v_lshrrev_b32_e32 v14, 8, v7
	s_wait_alu 0xfffd
	v_cndmask_b32_e64 v2, 0, 1, vcc_lo
	v_cmp_ne_u32_e32 vcc_lo, 0, v4
	v_bfe_u32 v15, v7, 20, 11
	v_bfe_u32 v17, v9, 20, 11
	v_sub_nc_u32_e32 v18, 0x3f1, v11
	v_and_or_b32 v2, 0xffe, v10, v2
	s_wait_alu 0xfffd
	v_cndmask_b32_e64 v4, 0, 1, vcc_lo
	v_cmp_ne_u32_e32 vcc_lo, 0, v6
	v_add_nc_u32_e32 v11, 0xfffffc10, v11
	v_sub_nc_u32_e32 v19, 0x3f1, v13
	v_lshrrev_b32_e32 v16, 8, v9
	v_and_or_b32 v4, 0xffe, v12, v4
	s_wait_alu 0xfffd
	v_cndmask_b32_e64 v6, 0, 1, vcc_lo
	v_cmp_ne_u32_e32 vcc_lo, 0, v8
	v_add_nc_u32_e32 v13, 0xfffffc10, v13
	v_sub_nc_u32_e32 v20, 0x3f1, v15
	v_sub_nc_u32_e32 v21, 0x3f1, v17
	v_med3_i32 v10, v18, 0, 13
	s_wait_alu 0xfffd
	v_cndmask_b32_e64 v8, 0, 1, vcc_lo
	v_cmp_ne_u32_e32 vcc_lo, 0, v2
	v_med3_i32 v12, v19, 0, 13
	v_and_or_b32 v6, 0xffe, v14, v6
	v_or_b32_e32 v18, 0x1000, v2
	v_lshl_or_b32 v19, v11, 12, v2
	s_wait_alu 0xfffd
	v_cndmask_b32_e64 v2, 0, 1, vcc_lo
	v_cmp_ne_u32_e32 vcc_lo, 0, v4
	v_add_nc_u32_e32 v15, 0xfffffc10, v15
	v_med3_i32 v14, v20, 0, 13
	v_and_or_b32 v8, 0xffe, v16, v8
	v_med3_i32 v16, v21, 0, 13
	v_or_b32_e32 v20, 0x1000, v4
	v_lshl_or_b32 v21, v13, 12, v4
	s_wait_alu 0xfffd
	v_cndmask_b32_e64 v4, 0, 1, vcc_lo
	v_cmp_ne_u32_e32 vcc_lo, 0, v6
	v_lshrrev_b32_e32 v26, v10, v18
	v_add_nc_u32_e32 v17, 0xfffffc10, v17
	v_or_b32_e32 v22, 0x1000, v6
	v_lshl_or_b32 v23, v15, 12, v6
	s_wait_alu 0xfffd
	v_cndmask_b32_e64 v6, 0, 1, vcc_lo
	v_cmp_ne_u32_e32 vcc_lo, 0, v8
	v_lshrrev_b32_e32 v27, v12, v20
	v_lshlrev_b32_e32 v10, v10, v26
	v_or_b32_e32 v24, 0x1000, v8
	v_lshl_or_b32 v25, v17, 12, v8
	s_wait_alu 0xfffd
	v_cndmask_b32_e64 v8, 0, 1, vcc_lo
	v_lshrrev_b32_e32 v28, v14, v22
	v_lshlrev_b32_e32 v12, v12, v27
	v_cmp_ne_u32_e32 vcc_lo, v10, v18
	v_lshrrev_b32_e32 v29, v16, v24
	v_lshl_or_b32 v2, v2, 9, 0x7c00
	v_lshlrev_b32_e32 v14, v14, v28
	v_lshl_or_b32 v6, v6, 9, 0x7c00
	s_wait_alu 0xfffd
	v_cndmask_b32_e64 v10, 0, 1, vcc_lo
	v_cmp_ne_u32_e32 vcc_lo, v12, v20
	v_lshlrev_b32_e32 v16, v16, v29
	v_lshl_or_b32 v4, v4, 9, 0x7c00
	v_lshrrev_b32_e32 v3, 16, v3
	v_or_b32_e32 v10, v26, v10
	s_wait_alu 0xfffd
	v_cndmask_b32_e64 v12, 0, 1, vcc_lo
	v_cmp_ne_u32_e32 vcc_lo, v14, v22
	v_lshrrev_b32_e32 v7, 16, v7
	v_lshl_or_b32 v8, v8, 9, 0x7c00
	v_lshrrev_b32_e32 v5, 16, v5
	v_or_b32_e32 v12, v27, v12
	s_wait_alu 0xfffd
	v_cndmask_b32_e64 v14, 0, 1, vcc_lo
	v_cmp_ne_u32_e32 vcc_lo, v16, v24
	v_lshrrev_b32_e32 v9, 16, v9
	s_delay_alu instid0(VALU_DEP_3) | instskip(SKIP_3) | instid1(VALU_DEP_2)
	v_or_b32_e32 v14, v28, v14
	s_wait_alu 0xfffd
	v_cndmask_b32_e64 v16, 0, 1, vcc_lo
	v_cmp_gt_i32_e32 vcc_lo, 1, v11
	v_or_b32_e32 v16, v29, v16
	s_wait_alu 0xfffd
	v_cndmask_b32_e32 v10, v19, v10, vcc_lo
	v_cmp_gt_i32_e32 vcc_lo, 1, v13
	s_delay_alu instid0(VALU_DEP_2)
	v_and_b32_e32 v18, 7, v10
	s_wait_alu 0xfffd
	v_cndmask_b32_e32 v12, v21, v12, vcc_lo
	v_cmp_gt_i32_e32 vcc_lo, 1, v15
	v_lshrrev_b32_e32 v10, 2, v10
	v_cmp_eq_u32_e64 s0, 3, v18
	s_wait_alu 0xfffd
	v_cndmask_b32_e32 v14, v23, v14, vcc_lo
	v_cmp_gt_i32_e32 vcc_lo, 1, v17
	s_delay_alu instid0(VALU_DEP_2)
	v_and_b32_e32 v20, 7, v14
	s_wait_alu 0xfffd
	v_cndmask_b32_e32 v16, v25, v16, vcc_lo
	v_cmp_lt_i32_e32 vcc_lo, 5, v18
	v_lshrrev_b32_e32 v14, 2, v14
	v_cmp_lt_i32_e64 s3, 5, v20
	v_cmp_eq_u32_e64 s4, 3, v20
	s_or_b32 vcc_lo, s0, vcc_lo
	s_wait_alu 0xfffe
	v_add_co_ci_u32_e32 v10, vcc_lo, 0, v10, vcc_lo
	v_and_b32_e32 v19, 7, v12
	v_lshrrev_b32_e32 v12, 2, v12
	s_delay_alu instid0(VALU_DEP_2) | instskip(SKIP_1) | instid1(VALU_DEP_1)
	v_cmp_lt_i32_e64 s1, 5, v19
	v_cmp_eq_u32_e64 s2, 3, v19
	s_or_b32 vcc_lo, s2, s1
	s_wait_alu 0xfffe
	v_add_co_ci_u32_e32 v12, vcc_lo, 0, v12, vcc_lo
	s_or_b32 vcc_lo, s4, s3
	s_wait_alu 0xfffe
	v_add_co_ci_u32_e32 v14, vcc_lo, 0, v14, vcc_lo
	v_and_b32_e32 v21, 7, v16
	v_lshrrev_b32_e32 v16, 2, v16
	s_delay_alu instid0(VALU_DEP_2) | instskip(SKIP_1) | instid1(VALU_DEP_1)
	v_cmp_lt_i32_e64 s5, 5, v21
	v_cmp_eq_u32_e64 s6, 3, v21
	s_or_b32 vcc_lo, s6, s5
	s_wait_alu 0xfffe
	v_add_co_ci_u32_e32 v16, vcc_lo, 0, v16, vcc_lo
	v_cmp_gt_i32_e32 vcc_lo, 31, v11
	s_wait_alu 0xfffd
	v_cndmask_b32_e32 v10, 0x7c00, v10, vcc_lo
	v_cmp_gt_i32_e32 vcc_lo, 31, v13
	s_wait_alu 0xfffd
	v_cndmask_b32_e32 v12, 0x7c00, v12, vcc_lo
	;; [unrolled: 3-line block ×4, first 2 shown]
	v_cmp_eq_u32_e32 vcc_lo, 0x40f, v11
	s_wait_alu 0xfffd
	v_cndmask_b32_e32 v2, v10, v2, vcc_lo
	v_cmp_eq_u32_e32 vcc_lo, 0x40f, v15
	s_delay_alu instid0(VALU_DEP_2) | instskip(SKIP_3) | instid1(VALU_DEP_2)
	v_and_or_b32 v2, 0x8000, v3, v2
	s_wait_alu 0xfffd
	v_cndmask_b32_e32 v6, v14, v6, vcc_lo
	v_cmp_eq_u32_e32 vcc_lo, 0x40f, v13
	v_and_or_b32 v3, 0x8000, v7, v6
	s_wait_alu 0xfffd
	v_cndmask_b32_e32 v4, v12, v4, vcc_lo
	v_cmp_eq_u32_e32 vcc_lo, 0x40f, v17
	v_and_b32_e32 v6, 0xffff, v2
	v_and_b32_e32 v7, 0xffff, v3
	s_delay_alu instid0(VALU_DEP_4)
	v_and_or_b32 v4, 0x8000, v5, v4
	s_wait_alu 0xfffd
	v_cndmask_b32_e32 v8, v16, v8, vcc_lo
	v_add_co_u32 v0, vcc_lo, v0, s8
	s_wait_alu 0xfffd
	v_add_co_ci_u32_e32 v1, vcc_lo, s9, v1, vcc_lo
	s_delay_alu instid0(VALU_DEP_3) | instskip(NEXT) | instid1(VALU_DEP_3)
	v_and_or_b32 v5, 0x8000, v9, v8
	v_add_co_u32 v2, vcc_lo, v0, s10
	v_lshl_or_b32 v4, v4, 16, v6
	s_wait_alu 0xfffd
	v_add_co_ci_u32_e32 v3, vcc_lo, s11, v1, vcc_lo
	v_lshl_or_b32 v5, v5, 16, v7
	global_store_b32 v[0:1], v4, off
	global_store_b32 v[2:3], v5, off
.LBB0_55:
	s_nop 0
	s_sendmsg sendmsg(MSG_DEALLOC_VGPRS)
	s_endpgm
	.section	.rodata,"a",@progbits
	.p2align	6, 0x0
	.amdhsa_kernel bluestein_single_back_len1120_dim1_half_op_CI_CI
		.amdhsa_group_segment_fixed_size 4480
		.amdhsa_private_segment_fixed_size 0
		.amdhsa_kernarg_size 104
		.amdhsa_user_sgpr_count 2
		.amdhsa_user_sgpr_dispatch_ptr 0
		.amdhsa_user_sgpr_queue_ptr 0
		.amdhsa_user_sgpr_kernarg_segment_ptr 1
		.amdhsa_user_sgpr_dispatch_id 0
		.amdhsa_user_sgpr_private_segment_size 0
		.amdhsa_wavefront_size32 1
		.amdhsa_uses_dynamic_stack 0
		.amdhsa_enable_private_segment 0
		.amdhsa_system_sgpr_workgroup_id_x 1
		.amdhsa_system_sgpr_workgroup_id_y 0
		.amdhsa_system_sgpr_workgroup_id_z 0
		.amdhsa_system_sgpr_workgroup_info 0
		.amdhsa_system_vgpr_workitem_id 0
		.amdhsa_next_free_vgpr 83
		.amdhsa_next_free_sgpr 18
		.amdhsa_reserve_vcc 1
		.amdhsa_float_round_mode_32 0
		.amdhsa_float_round_mode_16_64 0
		.amdhsa_float_denorm_mode_32 3
		.amdhsa_float_denorm_mode_16_64 3
		.amdhsa_fp16_overflow 0
		.amdhsa_workgroup_processor_mode 1
		.amdhsa_memory_ordered 1
		.amdhsa_forward_progress 0
		.amdhsa_round_robin_scheduling 0
		.amdhsa_exception_fp_ieee_invalid_op 0
		.amdhsa_exception_fp_denorm_src 0
		.amdhsa_exception_fp_ieee_div_zero 0
		.amdhsa_exception_fp_ieee_overflow 0
		.amdhsa_exception_fp_ieee_underflow 0
		.amdhsa_exception_fp_ieee_inexact 0
		.amdhsa_exception_int_div_zero 0
	.end_amdhsa_kernel
	.text
.Lfunc_end0:
	.size	bluestein_single_back_len1120_dim1_half_op_CI_CI, .Lfunc_end0-bluestein_single_back_len1120_dim1_half_op_CI_CI
                                        ; -- End function
	.section	.AMDGPU.csdata,"",@progbits
; Kernel info:
; codeLenInByte = 12784
; NumSgprs: 20
; NumVgprs: 83
; ScratchSize: 0
; MemoryBound: 0
; FloatMode: 240
; IeeeMode: 1
; LDSByteSize: 4480 bytes/workgroup (compile time only)
; SGPRBlocks: 2
; VGPRBlocks: 10
; NumSGPRsForWavesPerEU: 20
; NumVGPRsForWavesPerEU: 83
; Occupancy: 16
; WaveLimiterHint : 1
; COMPUTE_PGM_RSRC2:SCRATCH_EN: 0
; COMPUTE_PGM_RSRC2:USER_SGPR: 2
; COMPUTE_PGM_RSRC2:TRAP_HANDLER: 0
; COMPUTE_PGM_RSRC2:TGID_X_EN: 1
; COMPUTE_PGM_RSRC2:TGID_Y_EN: 0
; COMPUTE_PGM_RSRC2:TGID_Z_EN: 0
; COMPUTE_PGM_RSRC2:TIDIG_COMP_CNT: 0
	.text
	.p2alignl 7, 3214868480
	.fill 96, 4, 3214868480
	.type	__hip_cuid_f65aef1b322ff0,@object ; @__hip_cuid_f65aef1b322ff0
	.section	.bss,"aw",@nobits
	.globl	__hip_cuid_f65aef1b322ff0
__hip_cuid_f65aef1b322ff0:
	.byte	0                               ; 0x0
	.size	__hip_cuid_f65aef1b322ff0, 1

	.ident	"AMD clang version 19.0.0git (https://github.com/RadeonOpenCompute/llvm-project roc-6.4.0 25133 c7fe45cf4b819c5991fe208aaa96edf142730f1d)"
	.section	".note.GNU-stack","",@progbits
	.addrsig
	.addrsig_sym __hip_cuid_f65aef1b322ff0
	.amdgpu_metadata
---
amdhsa.kernels:
  - .args:
      - .actual_access:  read_only
        .address_space:  global
        .offset:         0
        .size:           8
        .value_kind:     global_buffer
      - .actual_access:  read_only
        .address_space:  global
        .offset:         8
        .size:           8
        .value_kind:     global_buffer
      - .actual_access:  read_only
        .address_space:  global
        .offset:         16
        .size:           8
        .value_kind:     global_buffer
      - .actual_access:  read_only
        .address_space:  global
        .offset:         24
        .size:           8
        .value_kind:     global_buffer
      - .actual_access:  read_only
        .address_space:  global
        .offset:         32
        .size:           8
        .value_kind:     global_buffer
      - .offset:         40
        .size:           8
        .value_kind:     by_value
      - .address_space:  global
        .offset:         48
        .size:           8
        .value_kind:     global_buffer
      - .address_space:  global
        .offset:         56
        .size:           8
        .value_kind:     global_buffer
      - .address_space:  global
        .offset:         64
        .size:           8
        .value_kind:     global_buffer
      - .address_space:  global
        .offset:         72
        .size:           8
        .value_kind:     global_buffer
      - .offset:         80
        .size:           4
        .value_kind:     by_value
      - .address_space:  global
        .offset:         88
        .size:           8
        .value_kind:     global_buffer
      - .address_space:  global
        .offset:         96
        .size:           8
        .value_kind:     global_buffer
    .group_segment_fixed_size: 4480
    .kernarg_segment_align: 8
    .kernarg_segment_size: 104
    .language:       OpenCL C
    .language_version:
      - 2
      - 0
    .max_flat_workgroup_size: 224
    .name:           bluestein_single_back_len1120_dim1_half_op_CI_CI
    .private_segment_fixed_size: 0
    .sgpr_count:     20
    .sgpr_spill_count: 0
    .symbol:         bluestein_single_back_len1120_dim1_half_op_CI_CI.kd
    .uniform_work_group_size: 1
    .uses_dynamic_stack: false
    .vgpr_count:     83
    .vgpr_spill_count: 0
    .wavefront_size: 32
    .workgroup_processor_mode: 1
amdhsa.target:   amdgcn-amd-amdhsa--gfx1201
amdhsa.version:
  - 1
  - 2
...

	.end_amdgpu_metadata
